;; amdgpu-corpus repo=ROCm/rocFFT kind=compiled arch=gfx906 opt=O3
	.text
	.amdgcn_target "amdgcn-amd-amdhsa--gfx906"
	.amdhsa_code_object_version 6
	.protected	bluestein_single_back_len1360_dim1_dp_op_CI_CI ; -- Begin function bluestein_single_back_len1360_dim1_dp_op_CI_CI
	.globl	bluestein_single_back_len1360_dim1_dp_op_CI_CI
	.p2align	8
	.type	bluestein_single_back_len1360_dim1_dp_op_CI_CI,@function
bluestein_single_back_len1360_dim1_dp_op_CI_CI: ; @bluestein_single_back_len1360_dim1_dp_op_CI_CI
; %bb.0:
	s_mov_b64 s[62:63], s[2:3]
	v_mul_u32_u24_e32 v1, 0x304, v0
	s_mov_b64 s[60:61], s[0:1]
	s_load_dwordx4 s[0:3], s[4:5], 0x28
	v_lshrrev_b32_e32 v1, 16, v1
	s_add_u32 s60, s60, s7
	v_mad_u64_u32 v[244:245], s[6:7], s6, 3, v[1:2]
	v_mov_b32_e32 v245, 0
	s_addc_u32 s61, s61, 0
	s_waitcnt lgkmcnt(0)
	v_cmp_gt_u64_e32 vcc, s[0:1], v[244:245]
	s_and_saveexec_b64 s[0:1], vcc
	s_cbranch_execz .LBB0_23
; %bb.1:
	s_mov_b32 s0, 0xaaaaaaab
	v_mul_hi_u32 v2, v244, s0
	v_mul_lo_u16_e32 v1, 0x55, v1
	s_load_dwordx2 s[12:13], s[4:5], 0x0
	s_load_dwordx2 s[14:15], s[4:5], 0x38
	v_sub_u16_e32 v237, v0, v1
	v_lshrrev_b32_e32 v0, 1, v2
	v_lshl_add_u32 v0, v0, 1, v0
	v_sub_u32_e32 v0, v244, v0
	v_mul_u32_u24_e32 v236, 0x550, v0
	s_movk_i32 s0, 0x50
	v_lshlrev_b32_e32 v0, 4, v237
	v_cmp_gt_u16_e32 vcc, s0, v237
	buffer_store_dword v0, off, s[60:63], 0 offset:56 ; 4-byte Folded Spill
	v_lshlrev_b32_e32 v0, 4, v236
	buffer_store_dword v0, off, s[60:63], 0 ; 4-byte Folded Spill
	s_and_saveexec_b64 s[6:7], vcc
	s_cbranch_execz .LBB0_3
; %bb.2:
	s_load_dwordx2 s[0:1], s[4:5], 0x18
	v_lshlrev_b32_e32 v140, 4, v237
	s_waitcnt lgkmcnt(0)
	v_mov_b32_e32 v22, s13
	v_or_b32_e32 v68, 0x280, v237
	v_mov_b32_e32 v69, 0xa00
	s_load_dwordx4 s[8:11], s[0:1], 0x0
	v_or_b32_e32 v134, 0x500, v237
	s_waitcnt lgkmcnt(0)
	v_mad_u64_u32 v[0:1], s[0:1], s10, v244, 0
	v_mad_u64_u32 v[2:3], s[0:1], s8, v237, 0
	s_mul_i32 s10, s8, 0x500
	v_mad_u64_u32 v[4:5], s[0:1], s11, v244, v[1:2]
	s_mul_hi_u32 s11, s8, 0x500
	v_mad_u64_u32 v[5:6], s[0:1], s9, v237, v[3:4]
	v_mov_b32_e32 v1, v4
	v_lshlrev_b64 v[0:1], 4, v[0:1]
	v_mov_b32_e32 v3, v5
	v_mov_b32_e32 v6, s3
	v_lshlrev_b64 v[2:3], 4, v[2:3]
	v_add_co_u32_e64 v20, s[0:1], s2, v0
	v_addc_co_u32_e64 v21, s[0:1], v6, v1, s[0:1]
	v_add_co_u32_e64 v34, s[0:1], v20, v2
	v_addc_co_u32_e64 v35, s[0:1], v21, v3, s[0:1]
	v_add_co_u32_e64 v112, s[0:1], s12, v140
	s_movk_i32 s2, 0x1000
	v_addc_co_u32_e64 v113, s[0:1], 0, v22, s[0:1]
	v_add_co_u32_e64 v36, s[0:1], s2, v112
	v_addc_co_u32_e64 v37, s[0:1], 0, v113, s[0:1]
	global_load_dwordx4 v[0:3], v140, s[12:13]
	global_load_dwordx4 v[4:7], v[34:35], off
	global_load_dwordx4 v[8:11], v140, s[12:13] offset:1280
	global_load_dwordx4 v[12:15], v140, s[12:13] offset:2560
	;; [unrolled: 1-line block ×3, first 2 shown]
	global_load_dwordx4 v[22:25], v[36:37], off offset:1024
	global_load_dwordx4 v[26:29], v[36:37], off offset:2304
	;; [unrolled: 1-line block ×3, first 2 shown]
	v_mad_u64_u32 v[36:37], s[0:1], s8, v68, 0
	s_movk_i32 s3, 0x2000
	v_add_co_u32_e64 v82, s[2:3], s3, v112
	v_mad_u64_u32 v[37:38], s[0:1], s9, v68, v[37:38]
	v_addc_co_u32_e64 v83, s[0:1], 0, v113, s[2:3]
	s_mul_i32 s2, s9, 0x500
	s_add_i32 s11, s11, s2
	v_mov_b32_e32 v39, s11
	v_lshlrev_b64 v[61:62], 4, v[36:37]
	v_add_co_u32_e64 v37, s[2:3], s10, v34
	v_addc_co_u32_e64 v38, s[2:3], v35, v39, s[2:3]
	v_mov_b32_e32 v40, s11
	v_add_co_u32_e64 v39, s[2:3], s10, v37
	v_addc_co_u32_e64 v40, s[2:3], v38, v40, s[2:3]
	v_mov_b32_e32 v41, s11
	;; [unrolled: 3-line block ×6, first 2 shown]
	v_add_co_u32_e64 v66, s[2:3], s10, v57
	v_add_co_u32_e64 v63, s[0:1], v20, v61
	v_addc_co_u32_e64 v67, s[2:3], v58, v59, s[2:3]
	v_addc_co_u32_e64 v64, s[0:1], v21, v62, s[0:1]
	v_mad_u64_u32 v[84:85], s[0:1], s8, v69, v[66:67]
	s_mul_i32 s0, s9, 0xa00
	global_load_dwordx4 v[34:37], v[37:38], off
	v_add_u32_e32 v85, s0, v85
	global_load_dwordx4 v[42:45], v[45:46], off
	v_add_co_u32_e64 v86, s[0:1], s10, v84
	global_load_dwordx4 v[38:41], v[39:40], off
	v_mov_b32_e32 v88, s11
	global_load_dwordx4 v[46:49], v[49:50], off
	v_mov_b32_e32 v100, s11
	;; [unrolled: 2-line block ×3, first 2 shown]
	global_load_dwordx4 v[54:57], v[57:58], off
	s_waitcnt vmcnt(12)
	v_mul_f64 v[138:139], v[6:7], v[2:3]
	global_load_dwordx4 v[58:61], v[66:67], off
	v_lshlrev_b32_e32 v66, 4, v68
	global_load_dwordx4 v[62:65], v[63:64], off
	s_nop 0
	global_load_dwordx4 v[66:69], v66, s[12:13]
	s_nop 0
	global_load_dwordx4 v[70:73], v[84:85], off
	global_load_dwordx4 v[74:77], v[82:83], off offset:768
	global_load_dwordx4 v[78:81], v[82:83], off offset:3328
	v_mov_b32_e32 v82, s11
	v_addc_co_u32_e64 v87, s[0:1], v85, v82, s[0:1]
	s_movk_i32 s0, 0x3000
	v_add_co_u32_e64 v106, s[0:1], s0, v112
	v_addc_co_u32_e64 v107, s[0:1], 0, v113, s[0:1]
	v_add_co_u32_e64 v98, s[0:1], s10, v86
	v_addc_co_u32_e64 v99, s[0:1], v87, v88, s[0:1]
	;; [unrolled: 2-line block ×3, first 2 shown]
	global_load_dwordx4 v[82:85], v[86:87], off
	s_nop 0
	global_load_dwordx4 v[86:89], v[98:99], off
	global_load_dwordx4 v[90:93], v[106:107], off offset:512
	global_load_dwordx4 v[94:97], v[106:107], off offset:1792
	s_nop 0
	global_load_dwordx4 v[98:101], v[108:109], off
	global_load_dwordx4 v[102:105], v[106:107], off offset:3072
	v_mov_b32_e32 v106, s11
	v_add_co_u32_e64 v110, s[0:1], s10, v108
	v_addc_co_u32_e64 v111, s[0:1], v109, v106, s[0:1]
	s_movk_i32 s0, 0x4000
	v_add_co_u32_e64 v126, s[0:1], s0, v112
	v_addc_co_u32_e64 v127, s[0:1], 0, v113, s[0:1]
	v_mov_b32_e32 v112, s11
	v_add_co_u32_e64 v122, s[0:1], s10, v110
	v_addc_co_u32_e64 v123, s[0:1], v111, v112, s[0:1]
	v_mad_u64_u32 v[130:131], s[0:1], s8, v134, 0
	global_load_dwordx4 v[106:109], v[110:111], off
	v_mov_b32_e32 v124, v131
	v_mad_u64_u32 v[131:132], s[0:1], s9, v134, v[124:125]
	global_load_dwordx4 v[110:113], v[122:123], off
	v_add_co_u32_e64 v122, s[0:1], s10, v122
	v_lshlrev_b64 v[130:131], 4, v[130:131]
	v_addc_co_u32_e64 v123, s[0:1], v123, v125, s[0:1]
	v_add_co_u32_e64 v20, s[0:1], v20, v130
	global_load_dwordx4 v[114:117], v[126:127], off offset:256
	global_load_dwordx4 v[118:121], v[126:127], off offset:1536
	v_addc_co_u32_e64 v21, s[0:1], v21, v131, s[0:1]
	global_load_dwordx4 v[122:125], v[122:123], off
	s_nop 0
	global_load_dwordx4 v[126:129], v[126:127], off offset:2816
	s_nop 0
	global_load_dwordx4 v[130:133], v[20:21], off
	v_lshlrev_b32_e32 v20, 4, v134
	global_load_dwordx4 v[134:137], v20, s[12:13]
	v_mul_f64 v[20:21], v[4:5], v[2:3]
	v_fma_f64 v[2:3], v[4:5], v[0:1], v[138:139]
	v_lshlrev_b32_e32 v138, 4, v236
	v_fma_f64 v[4:5], v[6:7], v[0:1], -v[20:21]
	v_lshl_add_u32 v6, v237, 4, v138
	s_waitcnt vmcnt(25)
	v_mul_f64 v[0:1], v[36:37], v[10:11]
	s_waitcnt vmcnt(22)
	v_mul_f64 v[20:21], v[46:47], v[24:25]
	v_add_u32_e32 v138, v138, v140
	ds_write_b128 v6, v[2:5]
	v_mul_f64 v[2:3], v[34:35], v[10:11]
	v_mul_f64 v[4:5], v[40:41], v[14:15]
	;; [unrolled: 1-line block ×6, first 2 shown]
	v_fma_f64 v[0:1], v[34:35], v[8:9], v[0:1]
	s_waitcnt vmcnt(15)
	v_mul_f64 v[24:25], v[60:61], v[76:77]
	v_fma_f64 v[2:3], v[36:37], v[8:9], -v[2:3]
	v_fma_f64 v[4:5], v[38:39], v[12:13], v[4:5]
	v_fma_f64 v[6:7], v[40:41], v[12:13], -v[6:7]
	v_fma_f64 v[8:9], v[42:43], v[16:17], v[10:11]
	;; [unrolled: 2-line block ×3, first 2 shown]
	v_mul_f64 v[16:17], v[52:53], v[28:29]
	v_mul_f64 v[18:19], v[50:51], v[28:29]
	v_fma_f64 v[14:15], v[48:49], v[22:23], -v[20:21]
	v_mul_f64 v[20:21], v[56:57], v[32:33]
	v_mul_f64 v[22:23], v[54:55], v[32:33]
	;; [unrolled: 1-line block ×5, first 2 shown]
	v_fma_f64 v[16:17], v[50:51], v[26:27], v[16:17]
	v_fma_f64 v[18:19], v[52:53], v[26:27], -v[18:19]
	v_fma_f64 v[24:25], v[58:59], v[74:75], v[24:25]
	v_fma_f64 v[20:21], v[54:55], v[30:31], v[20:21]
	v_fma_f64 v[22:23], v[56:57], v[30:31], -v[22:23]
	v_fma_f64 v[26:27], v[60:61], v[74:75], -v[28:29]
	v_fma_f64 v[28:29], v[62:63], v[66:67], v[32:33]
	v_fma_f64 v[30:31], v[64:65], v[66:67], -v[34:35]
	ds_write_b128 v138, v[0:3] offset:1280
	ds_write_b128 v138, v[4:7] offset:2560
	;; [unrolled: 1-line block ×8, first 2 shown]
	s_waitcnt vmcnt(14)
	v_mul_f64 v[0:1], v[72:73], v[80:81]
	v_mul_f64 v[2:3], v[70:71], v[80:81]
	s_waitcnt vmcnt(11)
	v_mul_f64 v[4:5], v[84:85], v[92:93]
	v_mul_f64 v[6:7], v[82:83], v[92:93]
	;; [unrolled: 3-line block ×4, first 2 shown]
	v_fma_f64 v[0:1], v[70:71], v[78:79], v[0:1]
	v_fma_f64 v[2:3], v[72:73], v[78:79], -v[2:3]
	v_fma_f64 v[4:5], v[82:83], v[90:91], v[4:5]
	v_fma_f64 v[6:7], v[84:85], v[90:91], -v[6:7]
	;; [unrolled: 2-line block ×4, first 2 shown]
	s_waitcnt vmcnt(5)
	v_mul_f64 v[16:17], v[108:109], v[116:117]
	v_mul_f64 v[18:19], v[106:107], v[116:117]
	s_waitcnt vmcnt(4)
	v_mul_f64 v[20:21], v[112:113], v[120:121]
	v_mul_f64 v[22:23], v[110:111], v[120:121]
	;; [unrolled: 3-line block ×4, first 2 shown]
	v_fma_f64 v[16:17], v[106:107], v[114:115], v[16:17]
	v_fma_f64 v[18:19], v[108:109], v[114:115], -v[18:19]
	v_fma_f64 v[20:21], v[110:111], v[118:119], v[20:21]
	v_fma_f64 v[22:23], v[112:113], v[118:119], -v[22:23]
	;; [unrolled: 2-line block ×4, first 2 shown]
	ds_write_b128 v138, v[0:3] offset:11520
	ds_write_b128 v138, v[4:7] offset:12800
	;; [unrolled: 1-line block ×8, first 2 shown]
.LBB0_3:
	s_or_b64 exec, exec, s[6:7]
	s_waitcnt vmcnt(0) lgkmcnt(0)
	s_barrier
	s_waitcnt lgkmcnt(0)
                                        ; implicit-def: $vgpr0_vgpr1
                                        ; implicit-def: $vgpr4_vgpr5
                                        ; implicit-def: $vgpr8_vgpr9
                                        ; implicit-def: $vgpr36_vgpr37
                                        ; implicit-def: $vgpr44_vgpr45
                                        ; implicit-def: $vgpr40_vgpr41
                                        ; implicit-def: $vgpr32_vgpr33
                                        ; implicit-def: $vgpr28_vgpr29
                                        ; implicit-def: $vgpr24_vgpr25
                                        ; implicit-def: $vgpr20_vgpr21
                                        ; implicit-def: $vgpr16_vgpr17
                                        ; implicit-def: $vgpr12_vgpr13
                                        ; implicit-def: $vgpr48_vgpr49
                                        ; implicit-def: $vgpr52_vgpr53
                                        ; implicit-def: $vgpr56_vgpr57
                                        ; implicit-def: $vgpr72_vgpr73
                                        ; implicit-def: $vgpr60_vgpr61
	s_and_saveexec_b64 s[0:1], vcc
	s_cbranch_execz .LBB0_5
; %bb.4:
	v_lshlrev_b32_e32 v0, 4, v237
	v_lshl_add_u32 v44, v236, 4, v0
	ds_read_b128 v[0:3], v44
	ds_read_b128 v[60:63], v44 offset:1280
	ds_read_b128 v[72:75], v44 offset:2560
	;; [unrolled: 1-line block ×16, first 2 shown]
.LBB0_5:
	s_or_b64 exec, exec, s[0:1]
	s_waitcnt lgkmcnt(0)
	v_add_f64 v[164:165], v[62:63], -v[46:47]
	v_add_f64 v[148:149], v[60:61], -v[44:45]
	s_mov_b32 s18, 0x5d8e7cdc
	s_mov_b32 s19, 0xbfd71e95
	v_add_f64 v[120:121], v[44:45], v[60:61]
	v_add_f64 v[128:129], v[46:47], v[62:63]
	v_add_f64 v[182:183], v[74:75], -v[38:39]
	v_add_f64 v[160:161], v[72:73], -v[36:37]
	v_mul_f64 v[84:85], v[164:165], s[18:19]
	v_mul_f64 v[86:87], v[148:149], s[18:19]
	s_mov_b32 s0, 0x370991
	s_mov_b32 s22, 0x2a9d6da3
	;; [unrolled: 1-line block ×4, first 2 shown]
	v_mul_f64 v[88:89], v[164:165], s[22:23]
	v_mul_f64 v[136:137], v[148:149], s[22:23]
	v_fma_f64 v[64:65], v[120:121], s[0:1], v[84:85]
	v_fma_f64 v[66:67], v[128:129], s[0:1], -v[86:87]
	v_add_f64 v[130:131], v[36:37], v[72:73]
	v_add_f64 v[144:145], v[38:39], v[74:75]
	v_mul_f64 v[90:91], v[182:183], s[22:23]
	v_mul_f64 v[92:93], v[160:161], s[22:23]
	v_add_f64 v[196:197], v[58:59], -v[42:43]
	v_add_f64 v[180:181], v[56:57], -v[40:41]
	s_mov_b32 s8, 0x75d4884
	s_mov_b32 s16, 0xeb564b22
	;; [unrolled: 1-line block ×6, first 2 shown]
	v_fma_f64 v[68:69], v[120:121], s[8:9], v[88:89]
	v_fma_f64 v[70:71], v[128:129], s[8:9], -v[136:137]
	v_add_f64 v[64:65], v[0:1], v[64:65]
	v_add_f64 v[66:67], v[2:3], v[66:67]
	v_mul_f64 v[94:95], v[182:183], s[16:17]
	v_mul_f64 v[140:141], v[160:161], s[16:17]
	v_fma_f64 v[76:77], v[130:131], s[8:9], v[90:91]
	v_fma_f64 v[78:79], v[144:145], s[8:9], -v[92:93]
	v_add_f64 v[142:143], v[40:41], v[56:57]
	v_add_f64 v[152:153], v[42:43], v[58:59]
	v_mul_f64 v[96:97], v[196:197], s[36:37]
	v_mul_f64 v[98:99], v[180:181], s[36:37]
	v_add_f64 v[214:215], v[54:55], -v[34:35]
	v_add_f64 v[198:199], v[52:53], -v[32:33]
	s_mov_b32 s10, 0x3259b75e
	s_mov_b32 s20, 0x2b2883cd
	;; [unrolled: 1-line block ×6, first 2 shown]
	v_add_f64 v[68:69], v[0:1], v[68:69]
	v_add_f64 v[70:71], v[2:3], v[70:71]
	v_fma_f64 v[80:81], v[130:131], s[10:11], v[94:95]
	v_fma_f64 v[82:83], v[144:145], s[10:11], -v[140:141]
	v_add_f64 v[64:65], v[76:77], v[64:65]
	v_add_f64 v[66:67], v[78:79], v[66:67]
	v_mul_f64 v[100:101], v[196:197], s[38:39]
	v_mul_f64 v[156:157], v[180:181], s[38:39]
	v_fma_f64 v[76:77], v[142:143], s[20:21], v[96:97]
	v_fma_f64 v[78:79], v[152:153], s[20:21], -v[98:99]
	v_add_f64 v[172:173], v[32:33], v[52:53]
	v_add_f64 v[174:175], v[34:35], v[54:55]
	v_mul_f64 v[132:133], v[214:215], s[16:17]
	v_mul_f64 v[134:135], v[198:199], s[16:17]
	v_add_f64 v[230:231], v[50:51], -v[30:31]
	v_add_f64 v[208:209], v[48:49], -v[28:29]
	s_mov_b32 s24, 0x6ed5f1bb
	s_mov_b32 s42, 0xacd6c6b4
	;; [unrolled: 1-line block ×6, first 2 shown]
	v_add_f64 v[68:69], v[80:81], v[68:69]
	v_add_f64 v[70:71], v[82:83], v[70:71]
	v_fma_f64 v[80:81], v[142:143], s[24:25], v[100:101]
	v_fma_f64 v[82:83], v[152:153], s[24:25], -v[156:157]
	v_add_f64 v[64:65], v[76:77], v[64:65]
	v_add_f64 v[66:67], v[78:79], v[66:67]
	v_mul_f64 v[138:139], v[214:215], s[42:43]
	v_mul_f64 v[170:171], v[198:199], s[42:43]
	v_fma_f64 v[76:77], v[172:173], s[10:11], v[132:133]
	v_fma_f64 v[78:79], v[174:175], s[10:11], -v[134:135]
	v_add_f64 v[166:167], v[28:29], v[48:49]
	v_add_f64 v[188:189], v[30:31], v[50:51]
	v_mul_f64 v[146:147], v[230:231], s[44:45]
	v_mul_f64 v[150:151], v[208:209], s[44:45]
	s_mov_b32 s26, 0x7faef3
	s_mov_b32 s30, 0xc61f0d01
	;; [unrolled: 1-line block ×6, first 2 shown]
	v_add_f64 v[68:69], v[80:81], v[68:69]
	v_add_f64 v[70:71], v[82:83], v[70:71]
	v_fma_f64 v[80:81], v[172:173], s[26:27], v[138:139]
	v_fma_f64 v[82:83], v[174:175], s[26:27], -v[170:171]
	v_add_f64 v[64:65], v[76:77], v[64:65]
	v_add_f64 v[66:67], v[78:79], v[66:67]
	v_fma_f64 v[76:77], v[166:167], s[30:31], v[146:147]
	v_fma_f64 v[78:79], v[188:189], s[30:31], -v[150:151]
	v_add_f64 v[232:233], v[6:7], -v[26:27]
	v_add_f64 v[228:229], v[4:5], -v[24:25]
	v_mul_f64 v[162:163], v[230:231], s[34:35]
	v_mul_f64 v[202:203], v[208:209], s[34:35]
	s_mov_b32 s28, 0x910ea3b9
	s_mov_b32 s29, 0xbfeb34fa
	;; [unrolled: 1-line block ×4, first 2 shown]
	v_add_f64 v[68:69], v[80:81], v[68:69]
	v_add_f64 v[70:71], v[82:83], v[70:71]
	;; [unrolled: 1-line block ×4, first 2 shown]
	v_mul_f64 v[154:155], v[232:233], s[38:39]
	v_mul_f64 v[158:159], v[228:229], s[38:39]
	v_add_f64 v[64:65], v[76:77], v[64:65]
	v_add_f64 v[66:67], v[78:79], v[66:67]
	v_fma_f64 v[76:77], v[166:167], s[28:29], v[162:163]
	v_fma_f64 v[78:79], v[188:189], s[28:29], -v[202:203]
	v_mul_f64 v[168:169], v[232:233], s[46:47]
	v_mul_f64 v[200:201], v[228:229], s[46:47]
	v_add_f64 v[234:235], v[14:15], -v[22:23]
	v_add_f64 v[212:213], v[12:13], -v[20:21]
	s_mov_b32 s41, 0xbfe0d888
	s_mov_b32 s40, s34
	;; [unrolled: 1-line block ×4, first 2 shown]
	v_fma_f64 v[80:81], v[190:191], s[24:25], v[154:155]
	v_fma_f64 v[82:83], v[206:207], s[24:25], -v[158:159]
	v_add_f64 v[68:69], v[76:77], v[68:69]
	v_add_f64 v[70:71], v[78:79], v[70:71]
	v_fma_f64 v[76:77], v[190:191], s[30:31], v[168:169]
	v_fma_f64 v[78:79], v[206:207], s[30:31], -v[200:201]
	v_add_f64 v[204:205], v[20:21], v[12:13]
	v_add_f64 v[216:217], v[22:23], v[14:15]
	v_mul_f64 v[176:177], v[234:235], s[40:41]
	v_mul_f64 v[178:179], v[212:213], s[40:41]
	;; [unrolled: 1-line block ×4, first 2 shown]
	v_add_f64 v[224:225], v[18:19], -v[10:11]
	v_add_f64 v[220:221], v[16:17], -v[8:9]
	s_mov_b32 s49, 0x3fd71e95
	s_mov_b32 s48, s18
	v_add_f64 v[64:65], v[80:81], v[64:65]
	v_add_f64 v[66:67], v[82:83], v[66:67]
	v_add_f64 v[68:69], v[76:77], v[68:69]
	v_add_f64 v[70:71], v[78:79], v[70:71]
	v_fma_f64 v[76:77], v[204:205], s[28:29], v[176:177]
	v_fma_f64 v[78:79], v[216:217], s[28:29], -v[178:179]
	v_fma_f64 v[80:81], v[204:205], s[20:21], v[184:185]
	v_fma_f64 v[82:83], v[216:217], s[20:21], -v[210:211]
	v_add_f64 v[218:219], v[8:9], v[16:17]
	v_add_f64 v[226:227], v[10:11], v[18:19]
	v_mul_f64 v[186:187], v[224:225], s[42:43]
	v_mul_f64 v[192:193], v[220:221], s[42:43]
	;; [unrolled: 1-line block ×4, first 2 shown]
	v_add_f64 v[64:65], v[76:77], v[64:65]
	v_add_f64 v[66:67], v[78:79], v[66:67]
	;; [unrolled: 1-line block ×4, first 2 shown]
	v_fma_f64 v[68:69], v[218:219], s[26:27], v[186:187]
	v_fma_f64 v[70:71], v[226:227], s[26:27], -v[192:193]
	v_fma_f64 v[80:81], v[218:219], s[0:1], v[194:195]
	v_fma_f64 v[82:83], v[226:227], s[0:1], -v[222:223]
	s_load_dwordx2 s[6:7], s[4:5], 0x20
	s_load_dwordx2 s[2:3], s[4:5], 0x8
	s_waitcnt lgkmcnt(0)
	s_barrier
	v_add_f64 v[68:69], v[68:69], v[64:65]
	v_add_f64 v[70:71], v[70:71], v[66:67]
	;; [unrolled: 1-line block ×4, first 2 shown]
	s_mov_b64 s[4:5], exec
	s_and_b64 s[52:53], s[4:5], vcc
	buffer_store_dword v237, off, s[60:63], 0 offset:4 ; 4-byte Folded Spill
	s_mov_b64 exec, s[52:53]
	s_cbranch_execz .LBB0_7
; %bb.6:
	v_mul_f64 v[76:77], v[128:129], s[26:27]
	buffer_store_dword v84, off, s[60:63], 0 offset:8 ; 4-byte Folded Spill
	s_nop 0
	buffer_store_dword v85, off, s[60:63], 0 offset:12 ; 4-byte Folded Spill
	s_mov_b32 s53, 0x3fc7851a
	s_mov_b32 s52, s42
	buffer_store_dword v86, off, s[60:63], 0 offset:116 ; 4-byte Folded Spill
	s_nop 0
	buffer_store_dword v87, off, s[60:63], 0 offset:120 ; 4-byte Folded Spill
	buffer_store_dword v88, off, s[60:63], 0 offset:68 ; 4-byte Folded Spill
	s_nop 0
	buffer_store_dword v89, off, s[60:63], 0 offset:72 ; 4-byte Folded Spill
	v_mul_f64 v[84:85], v[144:145], s[0:1]
	buffer_store_dword v90, off, s[60:63], 0 offset:40 ; 4-byte Folded Spill
	s_nop 0
	buffer_store_dword v91, off, s[60:63], 0 offset:44 ; 4-byte Folded Spill
	v_fma_f64 v[88:89], v[148:149], s[52:53], v[76:77]
	buffer_store_dword v92, off, s[60:63], 0 offset:100 ; 4-byte Folded Spill
	s_nop 0
	buffer_store_dword v93, off, s[60:63], 0 offset:104 ; 4-byte Folded Spill
	buffer_store_dword v94, off, s[60:63], 0 offset:132 ; 4-byte Folded Spill
	s_nop 0
	buffer_store_dword v95, off, s[60:63], 0 offset:136 ; 4-byte Folded Spill
	;; [unrolled: 3-line block ×3, first 2 shown]
	v_mul_f64 v[86:87], v[164:165], s[42:43]
	v_mul_f64 v[92:93], v[152:153], s[28:29]
	v_fma_f64 v[96:97], v[160:161], s[18:19], v[84:85]
	v_fma_f64 v[76:77], v[148:149], s[42:43], v[76:77]
	v_add_f64 v[88:89], v[2:3], v[88:89]
	buffer_store_dword v98, off, s[60:63], 0 offset:60 ; 4-byte Folded Spill
	s_nop 0
	buffer_store_dword v99, off, s[60:63], 0 offset:64 ; 4-byte Folded Spill
	buffer_store_dword v100, off, s[60:63], 0 offset:84 ; 4-byte Folded Spill
	s_nop 0
	buffer_store_dword v101, off, s[60:63], 0 offset:88 ; 4-byte Folded Spill
	v_mul_f64 v[94:95], v[182:183], s[48:49]
	v_fma_f64 v[98:99], v[120:121], s[26:27], v[86:87]
	v_mul_f64 v[100:101], v[174:175], s[8:9]
	v_fma_f64 v[104:105], v[180:181], s[34:35], v[92:93]
	v_fma_f64 v[84:85], v[160:161], s[48:49], v[84:85]
	v_add_f64 v[88:89], v[96:97], v[88:89]
	v_add_f64 v[76:77], v[2:3], v[76:77]
	v_mul_f64 v[90:91], v[188:189], s[24:25]
	v_mul_f64 v[102:103], v[196:197], s[40:41]
	v_fma_f64 v[106:107], v[130:131], s[0:1], v[94:95]
	v_add_f64 v[98:99], v[0:1], v[98:99]
	v_fma_f64 v[237:238], v[198:199], s[22:23], v[100:101]
	v_fma_f64 v[92:93], v[180:181], s[40:41], v[92:93]
	v_add_f64 v[88:89], v[104:105], v[88:89]
	v_add_f64 v[76:77], v[84:85], v[76:77]
	s_mov_b32 s59, 0x3fe9895b
	s_mov_b32 s58, s38
	;; [unrolled: 1-line block ×4, first 2 shown]
	v_mul_f64 v[82:83], v[206:207], s[20:21]
	v_mul_f64 v[96:97], v[214:215], s[54:55]
	v_fma_f64 v[239:240], v[142:143], s[28:29], v[102:103]
	v_add_f64 v[98:99], v[106:107], v[98:99]
	v_fma_f64 v[84:85], v[208:209], s[58:59], v[90:91]
	v_add_f64 v[88:89], v[237:238], v[88:89]
	;; [unrolled: 2-line block ×3, first 2 shown]
	v_fma_f64 v[86:87], v[120:121], s[26:27], -v[86:87]
	v_mul_f64 v[80:81], v[216:217], s[30:31]
	v_mul_f64 v[104:105], v[230:231], s[38:39]
	v_fma_f64 v[106:107], v[172:173], s[8:9], v[96:97]
	v_add_f64 v[98:99], v[239:240], v[98:99]
	v_fma_f64 v[92:93], v[228:229], s[36:37], v[82:83]
	v_add_f64 v[84:85], v[84:85], v[88:89]
	;; [unrolled: 2-line block ×3, first 2 shown]
	v_fma_f64 v[94:95], v[130:131], s[0:1], -v[94:95]
	v_add_f64 v[86:87], v[0:1], v[86:87]
	v_mul_f64 v[239:240], v[232:233], s[50:51]
	v_fma_f64 v[241:242], v[166:167], s[24:25], v[104:105]
	v_add_f64 v[98:99], v[106:107], v[98:99]
	v_fma_f64 v[100:101], v[212:213], s[46:47], v[80:81]
	v_add_f64 v[84:85], v[92:93], v[84:85]
	;; [unrolled: 2-line block ×3, first 2 shown]
	v_fma_f64 v[90:91], v[142:143], s[28:29], -v[102:103]
	v_add_f64 v[86:87], v[94:95], v[86:87]
	v_mul_f64 v[78:79], v[226:227], s[10:11]
	v_mul_f64 v[237:238], v[234:235], s[44:45]
	v_fma_f64 v[106:107], v[190:191], s[20:21], v[239:240]
	v_add_f64 v[98:99], v[241:242], v[98:99]
	v_fma_f64 v[80:81], v[212:213], s[44:45], v[80:81]
	v_add_f64 v[76:77], v[82:83], v[76:77]
	v_add_f64 v[82:83], v[100:101], v[84:85]
	v_fma_f64 v[84:85], v[172:173], s[8:9], -v[96:97]
	v_add_f64 v[86:87], v[90:91], v[86:87]
	s_mov_b32 s57, 0x3fefdd0d
	s_mov_b32 s56, s16
	v_fma_f64 v[88:89], v[220:221], s[16:17], v[78:79]
	v_mul_f64 v[92:93], v[224:225], s[56:57]
	v_fma_f64 v[94:95], v[204:205], s[30:31], v[237:238]
	v_add_f64 v[98:99], v[106:107], v[98:99]
	v_mul_f64 v[96:97], v[128:129], s[28:29]
	v_add_f64 v[80:81], v[80:81], v[76:77]
	v_mul_f64 v[100:101], v[164:165], s[40:41]
	v_fma_f64 v[76:77], v[166:167], s[24:25], -v[104:105]
	v_add_f64 v[84:85], v[84:85], v[86:87]
	v_fma_f64 v[90:91], v[218:219], s[10:11], v[92:93]
	v_mul_f64 v[86:87], v[144:145], s[20:21]
	v_add_f64 v[94:95], v[94:95], v[98:99]
	v_fma_f64 v[98:99], v[220:221], s[56:57], v[78:79]
	v_fma_f64 v[102:103], v[148:149], s[34:35], v[96:97]
	v_add_f64 v[78:79], v[88:89], v[82:83]
	v_mul_f64 v[104:105], v[182:183], s[50:51]
	v_fma_f64 v[82:83], v[120:121], s[28:29], v[100:101]
	v_fma_f64 v[106:107], v[190:191], s[20:21], -v[239:240]
	v_add_f64 v[84:85], v[76:77], v[84:85]
	v_mul_f64 v[88:89], v[152:153], s[10:11]
	v_fma_f64 v[239:240], v[160:161], s[36:37], v[86:87]
	v_add_f64 v[102:103], v[2:3], v[102:103]
	v_add_f64 v[76:77], v[90:91], v[94:95]
	v_mul_f64 v[90:91], v[196:197], s[16:17]
	v_fma_f64 v[94:95], v[130:131], s[20:21], v[104:105]
	v_add_f64 v[82:83], v[0:1], v[82:83]
	v_fma_f64 v[237:238], v[204:205], s[30:31], -v[237:238]
	v_add_f64 v[84:85], v[106:107], v[84:85]
	v_fma_f64 v[106:107], v[180:181], s[56:57], v[88:89]
	v_add_f64 v[102:103], v[239:240], v[102:103]
	v_mul_f64 v[239:240], v[174:175], s[24:25]
	v_fma_f64 v[92:93], v[218:219], s[10:11], -v[92:93]
	v_fma_f64 v[241:242], v[142:143], s[10:11], v[90:91]
	v_add_f64 v[94:95], v[94:95], v[82:83]
	v_mul_f64 v[245:246], v[214:215], s[58:59]
	v_add_f64 v[84:85], v[237:238], v[84:85]
	v_mul_f64 v[237:238], v[188:189], s[0:1]
	v_add_f64 v[102:103], v[106:107], v[102:103]
	v_fma_f64 v[106:107], v[198:199], s[38:39], v[239:240]
	v_add_f64 v[82:83], v[98:99], v[80:81]
	v_fma_f64 v[96:97], v[148:149], s[40:41], v[96:97]
	;; [unrolled: 2-line block ×3, first 2 shown]
	v_add_f64 v[80:81], v[92:93], v[84:85]
	v_mul_f64 v[84:85], v[230:231], s[18:19]
	v_fma_f64 v[92:93], v[208:209], s[48:49], v[237:238]
	v_add_f64 v[102:103], v[106:107], v[102:103]
	v_mul_f64 v[106:107], v[206:207], s[26:27]
	v_fma_f64 v[100:101], v[120:121], s[28:29], -v[100:101]
	v_fma_f64 v[86:87], v[160:161], s[50:51], v[86:87]
	v_add_f64 v[96:97], v[2:3], v[96:97]
	v_add_f64 v[94:95], v[98:99], v[94:95]
	v_fma_f64 v[98:99], v[166:167], s[0:1], v[84:85]
	v_fma_f64 v[88:89], v[180:181], s[16:17], v[88:89]
	v_add_f64 v[92:93], v[92:93], v[102:103]
	v_fma_f64 v[102:103], v[130:131], s[20:21], -v[104:105]
	v_add_f64 v[100:101], v[0:1], v[100:101]
	v_mul_f64 v[104:105], v[232:233], s[42:43]
	v_add_f64 v[86:87], v[86:87], v[96:97]
	v_fma_f64 v[96:97], v[228:229], s[52:53], v[106:107]
	v_add_f64 v[94:95], v[98:99], v[94:95]
	v_mul_f64 v[98:99], v[216:217], s[8:9]
	v_fma_f64 v[90:91], v[142:143], s[10:11], -v[90:91]
	v_fma_f64 v[239:240], v[198:199], s[58:59], v[239:240]
	v_add_f64 v[100:101], v[102:103], v[100:101]
	v_fma_f64 v[102:103], v[190:191], s[26:27], v[104:105]
	v_add_f64 v[86:87], v[88:89], v[86:87]
	v_add_f64 v[92:93], v[96:97], v[92:93]
	v_mul_f64 v[88:89], v[234:235], s[54:55]
	v_fma_f64 v[96:97], v[212:213], s[22:23], v[98:99]
	v_fma_f64 v[241:242], v[172:173], s[24:25], -v[245:246]
	v_fma_f64 v[237:238], v[208:209], s[18:19], v[237:238]
	v_add_f64 v[90:91], v[90:91], v[100:101]
	v_add_f64 v[94:95], v[102:103], v[94:95]
	v_mul_f64 v[102:103], v[226:227], s[30:31]
	v_mul_f64 v[100:101], v[224:225], s[44:45]
	v_add_f64 v[86:87], v[239:240], v[86:87]
	v_add_f64 v[92:93], v[96:97], v[92:93]
	v_fma_f64 v[96:97], v[204:205], s[8:9], v[88:89]
	v_fma_f64 v[84:85], v[166:167], s[0:1], -v[84:85]
	v_add_f64 v[90:91], v[241:242], v[90:91]
	v_fma_f64 v[106:107], v[228:229], s[42:43], v[106:107]
	v_fma_f64 v[239:240], v[220:221], s[46:47], v[102:103]
	;; [unrolled: 1-line block ×3, first 2 shown]
	v_add_f64 v[237:238], v[237:238], v[86:87]
	v_fma_f64 v[104:105], v[190:191], s[26:27], -v[104:105]
	v_add_f64 v[94:95], v[96:97], v[94:95]
	v_mul_f64 v[96:97], v[128:129], s[24:25]
	v_add_f64 v[90:91], v[84:85], v[90:91]
	v_fma_f64 v[88:89], v[204:205], s[8:9], -v[88:89]
	v_add_f64 v[86:87], v[239:240], v[92:93]
	v_mul_f64 v[239:240], v[144:145], s[30:31]
	v_fma_f64 v[102:103], v[220:221], s[44:45], v[102:103]
	v_mul_f64 v[110:111], v[226:227], s[20:21]
	v_add_f64 v[84:85], v[241:242], v[94:95]
	v_fma_f64 v[92:93], v[148:149], s[58:59], v[96:97]
	v_fma_f64 v[94:95], v[212:213], s[54:55], v[98:99]
	v_add_f64 v[98:99], v[106:107], v[237:238]
	v_add_f64 v[90:91], v[104:105], v[90:91]
	v_mul_f64 v[104:105], v[164:165], s[38:39]
	v_mul_f64 v[106:107], v[152:153], s[0:1]
	v_fma_f64 v[237:238], v[160:161], s[44:45], v[239:240]
	v_mul_f64 v[112:113], v[224:225], s[50:51]
	v_add_f64 v[92:93], v[2:3], v[92:93]
	v_fma_f64 v[96:97], v[148:149], s[38:39], v[96:97]
	v_add_f64 v[94:95], v[94:95], v[98:99]
	v_fma_f64 v[98:99], v[218:219], s[30:31], -v[100:101]
	v_add_f64 v[88:89], v[88:89], v[90:91]
	v_mul_f64 v[100:101], v[182:183], s[46:47]
	v_fma_f64 v[241:242], v[120:121], s[24:25], v[104:105]
	v_fma_f64 v[245:246], v[180:181], s[48:49], v[106:107]
	v_add_f64 v[92:93], v[237:238], v[92:93]
	v_mul_f64 v[237:238], v[174:175], s[28:29]
	v_add_f64 v[90:91], v[102:103], v[94:95]
	v_add_f64 v[96:97], v[2:3], v[96:97]
	;; [unrolled: 1-line block ×3, first 2 shown]
	v_mul_f64 v[98:99], v[196:197], s[18:19]
	v_fma_f64 v[94:95], v[130:131], s[30:31], v[100:101]
	v_add_f64 v[102:103], v[0:1], v[241:242]
	v_add_f64 v[92:93], v[245:246], v[92:93]
	v_fma_f64 v[241:242], v[198:199], s[34:35], v[237:238]
	v_fma_f64 v[106:107], v[180:181], s[18:19], v[106:107]
	v_fma_f64 v[104:105], v[120:121], s[24:25], -v[104:105]
	v_fma_f64 v[100:101], v[130:131], s[30:31], -v[100:101]
	v_mul_f64 v[118:119], v[226:227], s[24:25]
	v_mul_f64 v[122:123], v[224:225], s[38:39]
	v_add_f64 v[94:95], v[94:95], v[102:103]
	v_fma_f64 v[102:103], v[142:143], s[0:1], v[98:99]
	v_add_f64 v[92:93], v[241:242], v[92:93]
	v_mul_f64 v[241:242], v[188:189], s[10:11]
	v_add_f64 v[104:105], v[0:1], v[104:105]
	v_fma_f64 v[98:99], v[142:143], s[0:1], -v[98:99]
	v_add_f64 v[62:63], v[2:3], v[62:63]
	v_add_f64 v[60:61], v[0:1], v[60:61]
	v_mul_f64 v[124:125], v[226:227], s[8:9]
	v_add_f64 v[94:95], v[102:103], v[94:95]
	v_mul_f64 v[126:127], v[224:225], s[54:55]
	v_fma_f64 v[102:103], v[208:209], s[16:17], v[241:242]
	v_add_f64 v[100:101], v[100:101], v[104:105]
	v_add_f64 v[74:75], v[74:75], v[62:63]
	v_add_f64 v[72:73], v[72:73], v[60:61]
	v_add_f64 v[92:93], v[102:103], v[92:93]
	v_mul_f64 v[102:103], v[214:215], s[40:41]
	v_add_f64 v[98:99], v[98:99], v[100:101]
	v_add_f64 v[74:75], v[58:59], v[74:75]
	;; [unrolled: 1-line block ×3, first 2 shown]
	v_fma_f64 v[245:246], v[172:173], s[28:29], v[102:103]
	v_fma_f64 v[102:103], v[172:173], s[28:29], -v[102:103]
	v_add_f64 v[54:55], v[54:55], v[74:75]
	v_add_f64 v[52:53], v[52:53], v[72:73]
	v_mul_f64 v[72:73], v[182:183], s[38:39]
	v_add_f64 v[94:95], v[245:246], v[94:95]
	v_mul_f64 v[245:246], v[206:207], s[8:9]
	v_add_f64 v[98:99], v[102:103], v[98:99]
	v_add_f64 v[50:51], v[50:51], v[54:55]
	;; [unrolled: 1-line block ×3, first 2 shown]
	v_fma_f64 v[52:53], v[130:131], s[24:25], v[72:73]
	v_fma_f64 v[72:73], v[130:131], s[24:25], -v[72:73]
	v_fma_f64 v[247:248], v[228:229], s[54:55], v[245:246]
	v_add_f64 v[6:7], v[6:7], v[50:51]
	v_add_f64 v[4:5], v[4:5], v[48:49]
	v_add_f64 v[92:93], v[247:248], v[92:93]
	v_mul_f64 v[247:248], v[230:231], s[56:57]
	v_add_f64 v[6:7], v[14:15], v[6:7]
	v_add_f64 v[4:5], v[12:13], v[4:5]
	v_fma_f64 v[249:250], v[166:167], s[10:11], v[247:248]
	v_add_f64 v[6:7], v[18:19], v[6:7]
	v_add_f64 v[4:5], v[16:17], v[4:5]
	;; [unrolled: 1-line block ×3, first 2 shown]
	v_mul_f64 v[249:250], v[216:217], s[26:27]
	v_add_f64 v[6:7], v[10:11], v[6:7]
	v_add_f64 v[4:5], v[8:9], v[4:5]
	v_fma_f64 v[251:252], v[212:213], s[52:53], v[249:250]
	v_fma_f64 v[104:105], v[212:213], s[42:43], v[249:250]
	v_add_f64 v[6:7], v[22:23], v[6:7]
	v_add_f64 v[4:5], v[20:21], v[4:5]
	;; [unrolled: 1-line block ×3, first 2 shown]
	v_mul_f64 v[251:252], v[232:233], s[22:23]
	v_add_f64 v[6:7], v[26:27], v[6:7]
	v_add_f64 v[4:5], v[24:25], v[4:5]
	v_fma_f64 v[253:254], v[190:191], s[8:9], v[251:252]
	v_add_f64 v[6:7], v[30:31], v[6:7]
	v_add_f64 v[4:5], v[28:29], v[4:5]
	;; [unrolled: 1-line block ×3, first 2 shown]
	v_mul_f64 v[253:254], v[234:235], s[42:43]
	v_add_f64 v[6:7], v[34:35], v[6:7]
	v_add_f64 v[4:5], v[32:33], v[4:5]
	v_fma_f64 v[108:109], v[204:205], s[26:27], v[253:254]
	v_add_f64 v[6:7], v[42:43], v[6:7]
	v_add_f64 v[4:5], v[40:41], v[4:5]
	;; [unrolled: 1-line block ×3, first 2 shown]
	v_fma_f64 v[94:95], v[220:221], s[36:37], v[110:111]
	v_fma_f64 v[110:111], v[220:221], s[50:51], v[110:111]
	v_add_f64 v[26:27], v[38:39], v[6:7]
	v_add_f64 v[4:5], v[36:37], v[4:5]
	;; [unrolled: 1-line block ×3, first 2 shown]
	v_fma_f64 v[92:93], v[218:219], s[20:21], v[112:113]
	v_fma_f64 v[112:113], v[218:219], s[20:21], -v[112:113]
	v_add_f64 v[92:93], v[92:93], v[108:109]
	v_fma_f64 v[108:109], v[160:161], s[46:47], v[239:240]
	v_mul_f64 v[239:240], v[216:217], s[0:1]
	v_add_f64 v[96:97], v[108:109], v[96:97]
	v_mul_f64 v[108:109], v[152:153], s[8:9]
	v_add_f64 v[96:97], v[106:107], v[96:97]
	v_fma_f64 v[106:107], v[198:199], s[40:41], v[237:238]
	v_mul_f64 v[237:238], v[174:175], s[20:21]
	v_add_f64 v[96:97], v[106:107], v[96:97]
	v_fma_f64 v[106:107], v[208:209], s[56:57], v[241:242]
	;; [unrolled: 3-line block ×3, first 2 shown]
	v_mul_f64 v[245:246], v[182:183], s[34:35]
	v_add_f64 v[96:97], v[106:107], v[96:97]
	v_mul_f64 v[106:107], v[144:145], s[28:29]
	v_add_f64 v[96:97], v[104:105], v[96:97]
	v_mul_f64 v[104:105], v[128:129], s[30:31]
	v_fma_f64 v[102:103], v[160:161], s[40:41], v[106:107]
	v_fma_f64 v[106:107], v[160:161], s[34:35], v[106:107]
	;; [unrolled: 1-line block ×4, first 2 shown]
	v_add_f64 v[100:101], v[2:3], v[100:101]
	v_add_f64 v[104:105], v[2:3], v[104:105]
	;; [unrolled: 1-line block ×3, first 2 shown]
	v_fma_f64 v[102:103], v[166:167], s[10:11], -v[247:248]
	v_add_f64 v[104:105], v[106:107], v[104:105]
	v_fma_f64 v[106:107], v[180:181], s[54:55], v[108:109]
	v_fma_f64 v[247:248], v[130:131], s[28:29], v[245:246]
	v_add_f64 v[98:99], v[102:103], v[98:99]
	v_fma_f64 v[102:103], v[180:181], s[22:23], v[108:109]
	v_add_f64 v[104:105], v[106:107], v[104:105]
	v_fma_f64 v[106:107], v[120:121], s[30:31], -v[241:242]
	v_fma_f64 v[108:109], v[130:131], s[28:29], -v[245:246]
	v_add_f64 v[100:101], v[102:103], v[100:101]
	v_fma_f64 v[102:103], v[190:191], s[8:9], -v[251:252]
	v_add_f64 v[106:107], v[0:1], v[106:107]
	v_add_f64 v[98:99], v[102:103], v[98:99]
	v_fma_f64 v[102:103], v[204:205], s[26:27], -v[253:254]
	v_add_f64 v[106:107], v[108:109], v[106:107]
	v_add_f64 v[102:103], v[102:103], v[98:99]
	;; [unrolled: 1-line block ×3, first 2 shown]
	v_mul_f64 v[110:111], v[188:189], s[26:27]
	v_add_f64 v[96:97], v[112:113], v[102:103]
	v_fma_f64 v[102:103], v[198:199], s[50:51], v[237:238]
	v_mul_f64 v[112:113], v[206:207], s[10:11]
	v_add_f64 v[100:101], v[102:103], v[100:101]
	v_fma_f64 v[102:103], v[208:209], s[52:53], v[110:111]
	v_add_f64 v[100:101], v[102:103], v[100:101]
	v_fma_f64 v[102:103], v[228:229], s[16:17], v[112:113]
	v_add_f64 v[100:101], v[102:103], v[100:101]
	v_fma_f64 v[102:103], v[212:213], s[48:49], v[239:240]
	v_add_f64 v[100:101], v[102:103], v[100:101]
	v_fma_f64 v[102:103], v[120:121], s[30:31], v[241:242]
	v_add_f64 v[102:103], v[0:1], v[102:103]
	v_add_f64 v[102:103], v[247:248], v[102:103]
	v_mul_f64 v[247:248], v[196:197], s[54:55]
	v_fma_f64 v[249:250], v[142:143], s[8:9], v[247:248]
	v_fma_f64 v[108:109], v[142:143], s[8:9], -v[247:248]
	v_add_f64 v[102:103], v[249:250], v[102:103]
	v_mul_f64 v[249:250], v[214:215], s[36:37]
	v_add_f64 v[106:107], v[108:109], v[106:107]
	v_fma_f64 v[108:109], v[198:199], s[36:37], v[237:238]
	v_mul_f64 v[237:238], v[164:165], s[16:17]
	v_fma_f64 v[251:252], v[172:173], s[20:21], v[249:250]
	v_add_f64 v[104:105], v[108:109], v[104:105]
	v_fma_f64 v[108:109], v[172:173], s[20:21], -v[249:250]
	v_add_f64 v[102:103], v[251:252], v[102:103]
	v_mul_f64 v[251:252], v[230:231], s[42:43]
	v_add_f64 v[106:107], v[108:109], v[106:107]
	v_fma_f64 v[108:109], v[208:209], s[42:43], v[110:111]
	v_fma_f64 v[110:111], v[220:221], s[38:39], v[118:119]
	;; [unrolled: 1-line block ×3, first 2 shown]
	v_add_f64 v[104:105], v[108:109], v[104:105]
	v_fma_f64 v[108:109], v[166:167], s[26:27], -v[251:252]
	v_add_f64 v[102:103], v[253:254], v[102:103]
	v_mul_f64 v[253:254], v[232:233], s[56:57]
	v_add_f64 v[106:107], v[108:109], v[106:107]
	v_fma_f64 v[108:109], v[228:229], s[56:57], v[112:113]
	v_fma_f64 v[112:113], v[218:219], s[24:25], -v[122:123]
	v_fma_f64 v[114:115], v[190:191], s[10:11], v[253:254]
	v_add_f64 v[104:105], v[108:109], v[104:105]
	v_fma_f64 v[108:109], v[190:191], s[10:11], -v[253:254]
	v_add_f64 v[102:103], v[114:115], v[102:103]
	v_mul_f64 v[114:115], v[234:235], s[18:19]
	v_add_f64 v[106:107], v[108:109], v[106:107]
	v_fma_f64 v[108:109], v[212:213], s[18:19], v[239:240]
	v_mul_f64 v[239:240], v[182:183], s[42:43]
	v_mul_f64 v[182:183], v[120:121], s[0:1]
	v_fma_f64 v[116:117], v[204:205], s[0:1], v[114:115]
	v_add_f64 v[104:105], v[108:109], v[104:105]
	v_fma_f64 v[108:109], v[204:205], s[0:1], -v[114:115]
	v_mul_f64 v[114:115], v[128:129], s[10:11]
	v_add_f64 v[116:117], v[116:117], v[102:103]
	v_fma_f64 v[102:103], v[220:221], s[58:59], v[118:119]
	v_mul_f64 v[118:119], v[206:207], s[28:29]
	v_fma_f64 v[241:242], v[130:131], s[26:27], v[239:240]
	v_add_f64 v[108:109], v[108:109], v[106:107]
	v_add_f64 v[106:107], v[110:111], v[104:105]
	v_fma_f64 v[110:111], v[148:149], s[56:57], v[114:115]
	v_add_f64 v[102:103], v[102:103], v[100:101]
	v_fma_f64 v[100:101], v[218:219], s[24:25], v[122:123]
	v_mul_f64 v[122:123], v[216:217], s[24:25]
	v_fma_f64 v[56:57], v[148:149], s[16:17], v[114:115]
	v_mul_f64 v[114:115], v[128:129], s[20:21]
	v_add_f64 v[104:105], v[112:113], v[108:109]
	v_mul_f64 v[108:109], v[144:145], s[26:27]
	v_add_f64 v[62:63], v[2:3], v[110:111]
	v_mul_f64 v[110:111], v[152:153], s[30:31]
	v_mul_f64 v[112:113], v[174:175], s[0:1]
	v_add_f64 v[100:101], v[100:101], v[116:117]
	v_mul_f64 v[116:117], v[188:189], s[20:21]
	v_add_f64 v[56:57], v[2:3], v[56:57]
	v_fma_f64 v[60:61], v[160:161], s[52:53], v[108:109]
	v_fma_f64 v[58:59], v[160:161], s[42:43], v[108:109]
	v_fma_f64 v[108:109], v[130:131], s[26:27], -v[239:240]
	v_add_f64 v[60:61], v[60:61], v[62:63]
	v_fma_f64 v[62:63], v[180:181], s[44:45], v[110:111]
	v_add_f64 v[56:57], v[58:59], v[56:57]
	v_fma_f64 v[58:59], v[180:181], s[46:47], v[110:111]
	v_fma_f64 v[110:111], v[220:221], s[54:55], v[124:125]
	v_add_f64 v[60:61], v[62:63], v[60:61]
	v_fma_f64 v[62:63], v[198:199], s[18:19], v[112:113]
	v_add_f64 v[56:57], v[58:59], v[56:57]
	v_fma_f64 v[58:59], v[198:199], s[48:49], v[112:113]
	v_fma_f64 v[112:113], v[218:219], s[8:9], -v[126:127]
	v_add_f64 v[60:61], v[62:63], v[60:61]
	v_fma_f64 v[62:63], v[208:209], s[50:51], v[116:117]
	v_add_f64 v[56:57], v[58:59], v[56:57]
	v_fma_f64 v[58:59], v[208:209], s[36:37], v[116:117]
	v_mul_f64 v[116:117], v[164:165], s[36:37]
	v_mul_f64 v[164:165], v[232:233], s[18:19]
	v_add_f64 v[60:61], v[62:63], v[60:61]
	v_fma_f64 v[62:63], v[228:229], s[34:35], v[118:119]
	v_add_f64 v[56:57], v[58:59], v[56:57]
	v_fma_f64 v[58:59], v[228:229], s[40:41], v[118:119]
	v_fma_f64 v[74:75], v[120:121], s[20:21], v[116:117]
	v_fma_f64 v[116:117], v[120:121], s[20:21], -v[116:117]
	v_mul_f64 v[118:119], v[196:197], s[52:53]
	v_fma_f64 v[50:51], v[190:191], s[0:1], -v[164:165]
	v_add_f64 v[60:61], v[62:63], v[60:61]
	v_fma_f64 v[62:63], v[212:213], s[38:39], v[122:123]
	v_add_f64 v[56:57], v[58:59], v[56:57]
	v_fma_f64 v[58:59], v[212:213], s[58:59], v[122:123]
	v_add_f64 v[54:55], v[0:1], v[74:75]
	v_add_f64 v[116:117], v[0:1], v[116:117]
	v_fma_f64 v[122:123], v[142:143], s[26:27], v[118:119]
	v_fma_f64 v[118:119], v[142:143], s[26:27], -v[118:119]
	v_mul_f64 v[74:75], v[152:153], s[26:27]
	v_add_f64 v[60:61], v[62:63], v[60:61]
	v_fma_f64 v[62:63], v[120:121], s[10:11], v[237:238]
	v_add_f64 v[56:57], v[58:59], v[56:57]
	v_fma_f64 v[58:59], v[120:121], s[10:11], -v[237:238]
	v_add_f64 v[52:53], v[52:53], v[54:55]
	v_add_f64 v[72:73], v[72:73], v[116:117]
	buffer_load_dword v237, off, s[60:63], 0 offset:4 ; 4-byte Folded Reload
	v_fma_f64 v[54:55], v[180:181], s[42:43], v[74:75]
	v_fma_f64 v[74:75], v[180:181], s[52:53], v[74:75]
	v_add_f64 v[62:63], v[0:1], v[62:63]
	v_mul_f64 v[180:181], v[234:235], s[16:17]
	v_add_f64 v[58:59], v[0:1], v[58:59]
	v_add_f64 v[52:53], v[122:123], v[52:53]
	v_add_f64 v[72:73], v[118:119], v[72:73]
	v_mul_f64 v[116:117], v[190:191], s[24:25]
	v_mul_f64 v[118:119], v[216:217], s[28:29]
	v_add_f64 v[62:63], v[241:242], v[62:63]
	v_mul_f64 v[241:242], v[196:197], s[46:47]
	v_add_f64 v[58:59], v[108:109], v[58:59]
	v_mul_f64 v[196:197], v[120:121], s[8:9]
	v_mul_f64 v[120:121], v[172:173], s[10:11]
	v_fma_f64 v[12:13], v[204:205], s[10:11], -v[180:181]
	v_fma_f64 v[245:246], v[142:143], s[30:31], v[241:242]
	v_fma_f64 v[108:109], v[142:143], s[30:31], -v[241:242]
	v_add_f64 v[62:63], v[245:246], v[62:63]
	v_mul_f64 v[245:246], v[214:215], s[48:49]
	v_add_f64 v[58:59], v[108:109], v[58:59]
	v_fma_f64 v[247:248], v[172:173], s[0:1], v[245:246]
	v_fma_f64 v[108:109], v[172:173], s[0:1], -v[245:246]
	v_add_f64 v[62:63], v[247:248], v[62:63]
	v_mul_f64 v[247:248], v[230:231], s[36:37]
	v_add_f64 v[58:59], v[108:109], v[58:59]
	;; [unrolled: 5-line block ×4, first 2 shown]
	v_fma_f64 v[253:254], v[204:205], s[24:25], v[251:252]
	v_fma_f64 v[108:109], v[204:205], s[24:25], -v[251:252]
	v_add_f64 v[253:254], v[253:254], v[62:63]
	v_fma_f64 v[62:63], v[220:221], s[22:23], v[124:125]
	v_add_f64 v[108:109], v[108:109], v[58:59]
	v_mul_f64 v[124:125], v[214:215], s[46:47]
	v_add_f64 v[58:59], v[110:111], v[56:57]
	v_fma_f64 v[110:111], v[148:149], s[50:51], v[114:115]
	v_fma_f64 v[114:115], v[148:149], s[36:37], v[114:115]
	v_mul_f64 v[148:149], v[230:231], s[54:55]
	v_mul_f64 v[214:215], v[224:225], s[40:41]
	v_add_f64 v[62:63], v[62:63], v[60:61]
	v_add_f64 v[56:57], v[112:113], v[108:109]
	v_mul_f64 v[108:109], v[144:145], s[24:25]
	v_fma_f64 v[122:123], v[172:173], s[30:31], v[124:125]
	v_fma_f64 v[124:125], v[172:173], s[30:31], -v[124:125]
	v_add_f64 v[110:111], v[2:3], v[110:111]
	v_fma_f64 v[60:61], v[218:219], s[8:9], v[126:127]
	v_mul_f64 v[126:127], v[188:189], s[8:9]
	v_add_f64 v[114:115], v[2:3], v[114:115]
	v_mul_f64 v[172:173], v[172:173], s[26:27]
	v_fma_f64 v[112:113], v[160:161], s[58:59], v[108:109]
	v_fma_f64 v[108:109], v[160:161], s[38:39], v[108:109]
	;; [unrolled: 1-line block ×3, first 2 shown]
	v_fma_f64 v[148:149], v[166:167], s[8:9], -v[148:149]
	v_add_f64 v[72:73], v[124:125], v[72:73]
	v_add_f64 v[52:53], v[122:123], v[52:53]
	v_fma_f64 v[122:123], v[208:209], s[22:23], v[126:127]
	v_fma_f64 v[126:127], v[208:209], s[54:55], v[126:127]
	v_add_f64 v[110:111], v[112:113], v[110:111]
	v_mul_f64 v[112:113], v[174:175], s[30:31]
	v_add_f64 v[108:109], v[108:109], v[114:115]
	v_mul_f64 v[114:115], v[216:217], s[10:11]
	v_add_f64 v[72:73], v[148:149], v[72:73]
	v_mul_f64 v[208:209], v[216:217], s[20:21]
	v_add_f64 v[52:53], v[160:161], v[52:53]
	v_fma_f64 v[160:161], v[190:191], s[0:1], v[164:165]
	v_add_f64 v[54:55], v[54:55], v[110:111]
	v_fma_f64 v[110:111], v[198:199], s[44:45], v[112:113]
	v_fma_f64 v[112:113], v[198:199], s[46:47], v[112:113]
	v_add_f64 v[74:75], v[74:75], v[108:109]
	v_add_f64 v[14:15], v[50:51], v[72:73]
	buffer_load_dword v72, off, s[60:63], 0 offset:116 ; 4-byte Folded Reload
	buffer_load_dword v73, off, s[60:63], 0 offset:120 ; 4-byte Folded Reload
	;; [unrolled: 1-line block ×6, first 2 shown]
	v_mul_f64 v[108:109], v[128:129], s[0:1]
	v_add_f64 v[54:55], v[110:111], v[54:55]
	v_mul_f64 v[110:111], v[206:207], s[0:1]
	v_mul_f64 v[128:129], v[128:129], s[8:9]
	v_add_f64 v[74:75], v[112:113], v[74:75]
	v_add_f64 v[52:53], v[160:161], v[52:53]
	v_fma_f64 v[160:161], v[204:205], s[10:11], v[180:181]
	v_mul_f64 v[112:113], v[130:131], s[8:9]
	v_mul_f64 v[198:199], v[142:143], s[20:21]
	v_add_f64 v[54:55], v[122:123], v[54:55]
	v_fma_f64 v[122:123], v[228:229], s[48:49], v[110:111]
	v_add_f64 v[128:129], v[136:137], v[128:129]
	v_add_f64 v[74:75], v[126:127], v[74:75]
	v_mul_f64 v[126:127], v[152:153], s[20:21]
	v_mul_f64 v[152:153], v[152:153], s[24:25]
	v_fma_f64 v[110:111], v[228:229], s[18:19], v[110:111]
	v_add_f64 v[52:53], v[160:161], v[52:53]
	v_mul_f64 v[160:161], v[130:131], s[10:11]
	v_add_f64 v[54:55], v[122:123], v[54:55]
	v_fma_f64 v[122:123], v[212:213], s[56:57], v[114:115]
	v_add_f64 v[128:129], v[2:3], v[128:129]
	v_fma_f64 v[114:115], v[212:213], s[16:17], v[114:115]
	v_add_f64 v[152:153], v[156:157], v[152:153]
	v_mul_f64 v[156:157], v[188:189], s[30:31]
	v_mul_f64 v[188:189], v[188:189], s[28:29]
	v_add_f64 v[74:75], v[110:111], v[74:75]
	v_mul_f64 v[136:137], v[142:143], s[24:25]
	v_add_f64 v[54:55], v[122:123], v[54:55]
	v_mul_f64 v[122:123], v[144:145], s[8:9]
	v_mul_f64 v[144:145], v[144:145], s[10:11]
	;; [unrolled: 1-line block ×3, first 2 shown]
	v_add_f64 v[20:21], v[172:173], -v[138:139]
	v_add_f64 v[188:189], v[202:203], v[188:189]
	v_add_f64 v[74:75], v[114:115], v[74:75]
	;; [unrolled: 1-line block ×3, first 2 shown]
	v_mul_f64 v[142:143], v[206:207], s[24:25]
	v_mul_f64 v[202:203], v[204:205], s[20:21]
	v_add_f64 v[140:141], v[140:141], v[144:145]
	v_mul_f64 v[144:145], v[174:175], s[10:11]
	v_mul_f64 v[174:175], v[174:175], s[26:27]
	;; [unrolled: 1-line block ×5, first 2 shown]
	v_fma_f64 v[148:149], v[218:219], s[28:29], -v[214:215]
	v_add_f64 v[60:61], v[60:61], v[253:254]
	v_add_f64 v[128:129], v[140:141], v[128:129]
	;; [unrolled: 1-line block ×4, first 2 shown]
	v_mul_f64 v[140:141], v[166:167], s[28:29]
	v_mul_f64 v[174:175], v[190:191], s[30:31]
	;; [unrolled: 1-line block ×3, first 2 shown]
	v_add_f64 v[50:51], v[222:223], v[216:217]
	v_fma_f64 v[48:49], v[220:221], s[40:41], v[212:213]
	v_add_f64 v[128:129], v[152:153], v[128:129]
	v_mul_f64 v[152:153], v[206:207], s[30:31]
	v_mul_f64 v[206:207], v[204:205], s[28:29]
	v_fma_f64 v[110:111], v[220:221], s[34:35], v[212:213]
	v_add_f64 v[128:129], v[170:171], v[128:129]
	v_add_f64 v[152:153], v[200:201], v[152:153]
	v_mul_f64 v[170:171], v[218:219], s[26:27]
	v_fma_f64 v[200:201], v[218:219], s[28:29], v[214:215]
	v_add_f64 v[128:129], v[188:189], v[128:129]
	v_add_f64 v[24:25], v[170:171], -v[186:187]
	v_add_f64 v[128:129], v[152:153], v[128:129]
	s_waitcnt vmcnt(4)
	v_add_f64 v[72:73], v[72:73], v[108:109]
	s_waitcnt vmcnt(2)
	v_add_f64 v[16:17], v[182:183], -v[16:17]
	s_waitcnt vmcnt(0)
	v_add_f64 v[18:19], v[196:197], -v[18:19]
	v_add_f64 v[108:109], v[114:115], v[128:129]
	buffer_load_dword v114, off, s[60:63], 0 offset:132 ; 4-byte Folded Reload
	buffer_load_dword v115, off, s[60:63], 0 offset:136 ; 4-byte Folded Reload
	;; [unrolled: 1-line block ×4, first 2 shown]
	v_add_f64 v[2:3], v[2:3], v[72:73]
	buffer_load_dword v72, off, s[60:63], 0 offset:40 ; 4-byte Folded Reload
	buffer_load_dword v73, off, s[60:63], 0 offset:44 ; 4-byte Folded Reload
	v_add_f64 v[8:9], v[0:1], v[16:17]
	v_add_f64 v[0:1], v[0:1], v[18:19]
	buffer_load_dword v10, off, s[60:63], 0 offset:84 ; 4-byte Folded Reload
	buffer_load_dword v11, off, s[60:63], 0 offset:88 ; 4-byte Folded Reload
	buffer_load_dword v16, off, s[60:63], 0 offset:60 ; 4-byte Folded Reload
	buffer_load_dword v17, off, s[60:63], 0 offset:64 ; 4-byte Folded Reload
	buffer_load_dword v18, off, s[60:63], 0 offset:24 ; 4-byte Folded Reload
	buffer_load_dword v19, off, s[60:63], 0 offset:28 ; 4-byte Folded Reload
	v_add_f64 v[6:7], v[50:51], v[108:109]
	s_waitcnt vmcnt(10)
	v_add_f64 v[114:115], v[160:161], -v[114:115]
	s_waitcnt vmcnt(8)
	v_add_f64 v[122:123], v[128:129], v[122:123]
	s_waitcnt vmcnt(6)
	v_add_f64 v[72:73], v[112:113], -v[72:73]
	s_waitcnt vmcnt(4)
	v_add_f64 v[10:11], v[136:137], -v[10:11]
	s_waitcnt vmcnt(2)
	v_add_f64 v[16:17], v[16:17], v[126:127]
	s_waitcnt vmcnt(0)
	v_add_f64 v[18:19], v[198:199], -v[18:19]
	v_add_f64 v[2:3], v[122:123], v[2:3]
	v_add_f64 v[0:1], v[114:115], v[0:1]
	;; [unrolled: 1-line block ×4, first 2 shown]
	v_add_f64 v[16:17], v[120:121], -v[132:133]
	v_add_f64 v[8:9], v[18:19], v[8:9]
	v_add_f64 v[0:1], v[10:11], v[0:1]
	v_add_f64 v[18:19], v[150:151], v[156:157]
	v_add_f64 v[10:11], v[140:141], -v[162:163]
	v_add_f64 v[2:3], v[22:23], v[2:3]
	v_add_f64 v[22:23], v[130:131], -v[146:147]
	v_add_f64 v[8:9], v[16:17], v[8:9]
	v_add_f64 v[0:1], v[20:21], v[0:1]
	v_add_f64 v[20:21], v[158:159], v[142:143]
	v_add_f64 v[16:17], v[174:175], -v[168:169]
	v_add_f64 v[2:3], v[18:19], v[2:3]
	;; [unrolled: 6-line block ×4, first 2 shown]
	v_add_f64 v[2:3], v[48:49], v[74:75]
	v_add_f64 v[8:9], v[20:21], v[8:9]
	v_add_f64 v[0:1], v[10:11], v[0:1]
	v_add_f64 v[20:21], v[12:13], v[14:15]
	v_add_f64 v[14:15], v[46:47], v[26:27]
	v_add_f64 v[12:13], v[44:45], v[4:5]
	v_add_f64 v[10:11], v[18:19], v[22:23]
	v_add_f64 v[18:19], v[110:111], v[54:55]
	v_add_f64 v[8:9], v[24:25], v[8:9]
	v_add_f64 v[4:5], v[16:17], v[0:1]
	v_add_f64 v[0:1], v[148:149], v[20:21]
	v_mul_lo_u16_e32 v20, 17, v237
	v_add_lshl_u32 v20, v236, v20, 4
	v_add_f64 v[16:17], v[200:201], v[52:53]
	ds_write_b128 v20, v[12:15]
	ds_write_b128 v20, v[8:11] offset:16
	ds_write_b128 v20, v[4:7] offset:32
	;; [unrolled: 1-line block ×16, first 2 shown]
.LBB0_7:
	s_or_b64 exec, exec, s[4:5]
	v_add_lshl_u32 v255, v236, v237, 4
	s_waitcnt vmcnt(0) lgkmcnt(0)
	s_barrier
	ds_read_b128 v[80:83], v255
	ds_read_b128 v[76:79], v255 offset:1360
	ds_read_b128 v[116:119], v255 offset:8704
	;; [unrolled: 1-line block ×14, first 2 shown]
	v_cmp_gt_u16_e64 s[0:1], 17, v237
                                        ; implicit-def: $vgpr140_vgpr141
                                        ; implicit-def: $vgpr96_vgpr97
                                        ; implicit-def: $vgpr128_vgpr129
	s_and_saveexec_b64 s[4:5], s[0:1]
	s_cbranch_execz .LBB0_9
; %bb.8:
	ds_read_b128 v[64:67], v255 offset:4080
	ds_read_b128 v[68:71], v255 offset:8432
	;; [unrolled: 1-line block ×5, first 2 shown]
.LBB0_9:
	s_or_b64 exec, exec, s[4:5]
	s_movk_i32 s4, 0xf1
	v_mul_lo_u16_sdwa v0, v237, s4 dst_sel:DWORD dst_unused:UNUSED_PAD src0_sel:BYTE_0 src1_sel:DWORD
	v_lshrrev_b16_e32 v144, 12, v0
	v_mul_lo_u16_e32 v0, 17, v144
	v_sub_u16_e32 v145, v237, v0
	v_mov_b32_e32 v0, 6
	v_lshlrev_b32_sdwa v1, v0, v145 dst_sel:DWORD dst_unused:UNUSED_PAD src0_sel:DWORD src1_sel:BYTE_0
	global_load_dwordx4 v[32:35], v1, s[2:3] offset:48
	global_load_dwordx4 v[36:39], v1, s[2:3] offset:32
	;; [unrolled: 1-line block ×3, first 2 shown]
	global_load_dwordx4 v[48:51], v1, s[2:3]
	v_add_u16_e32 v1, 0x55, v237
	v_mul_lo_u16_sdwa v2, v1, s4 dst_sel:DWORD dst_unused:UNUSED_PAD src0_sel:BYTE_0 src1_sel:DWORD
	v_lshrrev_b16_e32 v146, 12, v2
	v_mul_lo_u16_e32 v2, 17, v146
	v_sub_u16_e32 v147, v1, v2
	v_lshlrev_b32_sdwa v1, v0, v147 dst_sel:DWORD dst_unused:UNUSED_PAD src0_sel:DWORD src1_sel:BYTE_0
	global_load_dwordx4 v[198:201], v1, s[2:3] offset:48
	global_load_dwordx4 v[202:205], v1, s[2:3] offset:32
	;; [unrolled: 1-line block ×3, first 2 shown]
	global_load_dwordx4 v[210:213], v1, s[2:3]
	v_add_u16_e32 v1, 0xaa, v237
	v_mul_lo_u16_sdwa v2, v1, s4 dst_sel:DWORD dst_unused:UNUSED_PAD src0_sel:BYTE_0 src1_sel:DWORD
	v_lshrrev_b16_e32 v148, 12, v2
	v_mul_lo_u16_e32 v2, 17, v148
	v_sub_u16_e32 v149, v1, v2
	v_lshlrev_b32_sdwa v0, v0, v149 dst_sel:DWORD dst_unused:UNUSED_PAD src0_sel:DWORD src1_sel:BYTE_0
	global_load_dwordx4 v[44:47], v0, s[2:3] offset:48
	global_load_dwordx4 v[52:55], v0, s[2:3] offset:32
	;; [unrolled: 1-line block ×3, first 2 shown]
	global_load_dwordx4 v[60:63], v0, s[2:3]
	v_add_u32_e32 v0, 0xff, v237
	s_mov_b32 s4, 0xf0f1
	v_mul_u32_u24_sdwa v1, v0, s4 dst_sel:DWORD dst_unused:UNUSED_PAD src0_sel:WORD_0 src1_sel:DWORD
	v_lshrrev_b32_e32 v1, 20, v1
	v_mul_lo_u16_e32 v1, 17, v1
	v_sub_u16_e32 v0, v0, v1
	buffer_store_dword v0, off, s[60:63], 0 offset:60 ; 4-byte Folded Spill
	v_lshlrev_b16_e32 v0, 2, v0
	v_lshlrev_b32_e32 v0, 4, v0
	global_load_dwordx4 v[16:19], v0, s[2:3]
	global_load_dwordx4 v[28:31], v0, s[2:3] offset:16
	global_load_dwordx4 v[24:27], v0, s[2:3] offset:32
	;; [unrolled: 1-line block ×3, first 2 shown]
	s_load_dwordx4 s[4:7], s[6:7], 0x0
	s_mov_b32 s10, 0x134454ff
	s_mov_b32 s11, 0x3fee6f0e
	;; [unrolled: 1-line block ×10, first 2 shown]
	s_waitcnt vmcnt(16) lgkmcnt(0)
	v_mul_f64 v[12:13], v[114:115], v[34:35]
	s_waitcnt vmcnt(15)
	v_mul_f64 v[8:9], v[138:139], v[38:39]
	s_waitcnt vmcnt(14)
	;; [unrolled: 2-line block ×3, first 2 shown]
	v_mul_f64 v[0:1], v[134:135], v[50:51]
	v_mul_f64 v[2:3], v[132:133], v[50:51]
	;; [unrolled: 1-line block ×4, first 2 shown]
	s_waitcnt vmcnt(12)
	v_mul_f64 v[162:163], v[90:91], v[200:201]
	s_waitcnt vmcnt(11)
	v_mul_f64 v[158:159], v[126:127], v[204:205]
	s_waitcnt vmcnt(10)
	v_mul_f64 v[154:155], v[102:103], v[208:209]
	s_waitcnt vmcnt(9)
	v_mul_f64 v[150:151], v[122:123], v[212:213]
	v_fma_f64 v[132:133], v[132:133], v[48:49], -v[0:1]
	v_mul_f64 v[152:153], v[120:121], v[212:213]
	v_mul_f64 v[156:157], v[100:101], v[208:209]
	s_waitcnt vmcnt(8)
	v_mul_f64 v[178:179], v[86:87], v[46:47]
	s_waitcnt vmcnt(7)
	v_mul_f64 v[174:175], v[94:95], v[54:55]
	v_mul_f64 v[160:161], v[124:125], v[204:205]
	s_waitcnt vmcnt(5)
	v_mul_f64 v[166:167], v[106:107], v[62:63]
	v_mul_f64 v[164:165], v[88:89], v[200:201]
	;; [unrolled: 1-line block ×4, first 2 shown]
	v_fma_f64 v[134:135], v[134:135], v[48:49], v[2:3]
	v_fma_f64 v[116:117], v[116:117], v[40:41], -v[4:5]
	v_fma_f64 v[120:121], v[120:121], v[210:211], -v[150:151]
	s_waitcnt vmcnt(3)
	v_mul_f64 v[182:183], v[70:71], v[18:19]
	v_mul_f64 v[184:185], v[68:69], v[18:19]
	buffer_store_dword v210, off, s[60:63], 0 offset:132 ; 4-byte Folded Spill
	s_nop 0
	buffer_store_dword v211, off, s[60:63], 0 offset:136 ; 4-byte Folded Spill
	buffer_store_dword v212, off, s[60:63], 0 offset:140 ; 4-byte Folded Spill
	buffer_store_dword v213, off, s[60:63], 0 offset:144 ; 4-byte Folded Spill
	v_fma_f64 v[150:151], v[100:101], v[206:207], -v[154:155]
	buffer_store_dword v206, off, s[60:63], 0 offset:116 ; 4-byte Folded Spill
	s_nop 0
	buffer_store_dword v207, off, s[60:63], 0 offset:120 ; 4-byte Folded Spill
	buffer_store_dword v208, off, s[60:63], 0 offset:124 ; 4-byte Folded Spill
	buffer_store_dword v209, off, s[60:63], 0 offset:128 ; 4-byte Folded Spill
	v_fma_f64 v[124:125], v[124:125], v[202:203], -v[158:159]
	;; [unrolled: 6-line block ×4, first 2 shown]
	v_fma_f64 v[162:163], v[92:93], v[52:53], -v[174:175]
	v_add_f64 v[2:3], v[80:81], v[132:133]
	buffer_store_dword v52, off, s[60:63], 0 offset:156 ; 4-byte Folded Spill
	s_nop 0
	buffer_store_dword v53, off, s[60:63], 0 offset:160 ; 4-byte Folded Spill
	buffer_store_dword v54, off, s[60:63], 0 offset:164 ; 4-byte Folded Spill
	;; [unrolled: 1-line block ×3, first 2 shown]
	v_fma_f64 v[166:167], v[84:85], v[44:45], -v[178:179]
	buffer_store_dword v44, off, s[60:63], 0 offset:68 ; 4-byte Folded Spill
	s_nop 0
	buffer_store_dword v45, off, s[60:63], 0 offset:72 ; 4-byte Folded Spill
	buffer_store_dword v46, off, s[60:63], 0 offset:76 ; 4-byte Folded Spill
	;; [unrolled: 1-line block ×3, first 2 shown]
	v_fma_f64 v[0:1], v[68:69], v[16:17], -v[182:183]
	buffer_store_dword v16, off, s[60:63], 0 offset:172 ; 4-byte Folded Spill
	s_nop 0
	buffer_store_dword v17, off, s[60:63], 0 offset:176 ; 4-byte Folded Spill
	buffer_store_dword v18, off, s[60:63], 0 offset:180 ; 4-byte Folded Spill
	;; [unrolled: 1-line block ×3, first 2 shown]
	s_waitcnt vmcnt(30)
	v_mul_f64 v[186:187], v[142:143], v[30:31]
	s_waitcnt vmcnt(29)
	v_mul_f64 v[190:191], v[98:99], v[26:27]
	v_fma_f64 v[136:137], v[136:137], v[36:37], -v[8:9]
	v_add_f64 v[8:9], v[2:3], v[116:117]
	v_mul_f64 v[188:189], v[140:141], v[30:31]
	v_mul_f64 v[192:193], v[96:97], v[26:27]
	s_waitcnt vmcnt(28)
	v_mul_f64 v[194:195], v[130:131], v[22:23]
	v_mul_f64 v[196:197], v[128:129], v[22:23]
	v_fma_f64 v[2:3], v[140:141], v[28:29], -v[186:187]
	buffer_store_dword v28, off, s[60:63], 0 offset:220 ; 4-byte Folded Spill
	s_nop 0
	buffer_store_dword v29, off, s[60:63], 0 offset:224 ; 4-byte Folded Spill
	buffer_store_dword v30, off, s[60:63], 0 offset:228 ; 4-byte Folded Spill
	;; [unrolled: 1-line block ×3, first 2 shown]
	v_fma_f64 v[138:139], v[138:139], v[36:37], v[10:11]
	v_add_f64 v[92:93], v[8:9], v[136:137]
	v_fma_f64 v[8:9], v[96:97], v[24:25], -v[190:191]
	buffer_store_dword v24, off, s[60:63], 0 offset:204 ; 4-byte Folded Spill
	s_nop 0
	buffer_store_dword v25, off, s[60:63], 0 offset:208 ; 4-byte Folded Spill
	buffer_store_dword v26, off, s[60:63], 0 offset:212 ; 4-byte Folded Spill
	;; [unrolled: 1-line block ×3, first 2 shown]
	v_fma_f64 v[10:11], v[128:129], v[20:21], -v[194:195]
	buffer_store_dword v20, off, s[60:63], 0 offset:188 ; 4-byte Folded Spill
	s_nop 0
	buffer_store_dword v21, off, s[60:63], 0 offset:192 ; 4-byte Folded Spill
	buffer_store_dword v22, off, s[60:63], 0 offset:196 ; 4-byte Folded Spill
	;; [unrolled: 1-line block ×3, first 2 shown]
	v_mul_f64 v[14:15], v[112:113], v[34:35]
	v_fma_f64 v[112:113], v[112:113], v[32:33], -v[12:13]
	v_add_f64 v[4:5], v[116:117], v[136:137]
	v_mul_f64 v[168:169], v[104:105], v[62:63]
	v_fma_f64 v[118:119], v[118:119], v[40:41], v[6:7]
	v_add_f64 v[68:69], v[132:133], -v[116:117]
	v_mul_f64 v[170:171], v[110:111], v[58:59]
	v_mul_f64 v[172:173], v[108:109], v[58:59]
	v_fma_f64 v[114:115], v[114:115], v[32:33], v[14:15]
	v_add_f64 v[88:89], v[132:133], v[112:113]
	v_fma_f64 v[84:85], v[4:5], -0.5, v[80:81]
	v_add_f64 v[96:97], v[116:117], -v[132:133]
	v_add_f64 v[104:105], v[82:83], v[134:135]
	v_fma_f64 v[158:159], v[108:109], v[56:57], -v[170:171]
	v_add_f64 v[108:109], v[132:133], -v[112:113]
	v_add_f64 v[132:133], v[162:163], -v[166:167]
	v_fma_f64 v[80:81], v[88:89], -0.5, v[80:81]
	v_fma_f64 v[122:123], v[122:123], v[210:211], v[152:153]
	v_fma_f64 v[102:103], v[102:103], v[206:207], v[156:157]
	;; [unrolled: 1-line block ×6, first 2 shown]
	v_add_f64 v[90:91], v[112:113], -v[136:137]
	v_fma_f64 v[164:165], v[94:95], v[52:53], v[176:177]
	v_fma_f64 v[168:169], v[86:87], v[44:45], v[180:181]
	v_add_f64 v[86:87], v[118:119], -v[138:139]
	v_fma_f64 v[6:7], v[70:71], v[16:17], v[184:185]
	v_add_f64 v[70:71], v[134:135], -v[114:115]
	v_add_f64 v[88:89], v[68:69], v[90:91]
	v_add_f64 v[68:69], v[92:93], v[112:113]
	;; [unrolled: 1-line block ×3, first 2 shown]
	v_add_f64 v[128:129], v[102:103], -v[126:127]
	v_fma_f64 v[94:95], v[70:71], s[10:11], v[84:85]
	v_fma_f64 v[84:85], v[70:71], s[16:17], v[84:85]
	;; [unrolled: 1-line block ×3, first 2 shown]
	v_fma_f64 v[106:107], v[92:93], -0.5, v[82:83]
	v_fma_f64 v[12:13], v[98:99], v[24:25], v[192:193]
	v_add_f64 v[98:99], v[136:137], -v[112:113]
	v_add_f64 v[112:113], v[118:119], -v[134:135]
	v_fma_f64 v[90:91], v[86:87], s[8:9], v[94:95]
	v_fma_f64 v[94:95], v[86:87], s[16:17], v[80:81]
	;; [unrolled: 1-line block ×5, first 2 shown]
	v_add_f64 v[130:131], v[124:125], -v[100:101]
	v_add_f64 v[92:93], v[96:97], v[98:99]
	v_fma_f64 v[96:97], v[108:109], s[16:17], v[106:107]
	v_add_f64 v[98:99], v[134:135], v[114:115]
	v_fma_f64 v[86:87], v[70:71], s[8:9], v[94:95]
	v_fma_f64 v[70:71], v[70:71], s[18:19], v[80:81]
	v_add_f64 v[94:95], v[104:105], v[118:119]
	v_add_f64 v[104:105], v[116:117], -v[136:137]
	v_fma_f64 v[80:81], v[88:89], s[20:21], v[90:91]
	v_fma_f64 v[84:85], v[88:89], s[20:21], v[84:85]
	v_add_f64 v[90:91], v[134:135], -v[118:119]
	v_fma_f64 v[106:107], v[108:109], s[10:11], v[106:107]
	v_fma_f64 v[88:89], v[92:93], s[20:21], v[86:87]
	v_fma_f64 v[92:93], v[92:93], s[20:21], v[70:71]
	v_fma_f64 v[70:71], v[98:99], -0.5, v[82:83]
	v_add_f64 v[82:83], v[94:95], v[138:139]
	v_fma_f64 v[86:87], v[104:105], s[18:19], v[96:97]
	v_add_f64 v[94:95], v[76:77], v[120:121]
	v_add_f64 v[96:97], v[150:151], v[124:125]
	v_add_f64 v[98:99], v[114:115], -v[138:139]
	v_add_f64 v[116:117], v[138:139], -v[114:115]
	;; [unrolled: 1-line block ×3, first 2 shown]
	v_fma_f64 v[110:111], v[104:105], s[10:11], v[70:71]
	v_fma_f64 v[70:71], v[104:105], s[16:17], v[70:71]
	v_add_f64 v[136:137], v[154:155], -v[166:167]
	v_add_f64 v[94:95], v[94:95], v[150:151]
	v_fma_f64 v[96:97], v[96:97], -0.5, v[76:77]
	v_add_f64 v[90:91], v[90:91], v[98:99]
	v_fma_f64 v[98:99], v[104:105], s[8:9], v[106:107]
	v_add_f64 v[106:107], v[112:113], v[116:117]
	v_add_f64 v[112:113], v[120:121], v[100:101]
	v_fma_f64 v[104:105], v[108:109], s[18:19], v[110:111]
	v_fma_f64 v[108:109], v[108:109], s[8:9], v[70:71]
	v_add_f64 v[110:111], v[94:95], v[124:125]
	v_fma_f64 v[116:117], v[118:119], s[10:11], v[96:97]
	v_add_f64 v[70:71], v[82:83], v[114:115]
	v_fma_f64 v[82:83], v[90:91], s[20:21], v[86:87]
	v_fma_f64 v[86:87], v[90:91], s[20:21], v[98:99]
	v_fma_f64 v[98:99], v[112:113], -0.5, v[76:77]
	v_fma_f64 v[90:91], v[106:107], s[20:21], v[104:105]
	v_fma_f64 v[94:95], v[106:107], s[20:21], v[108:109]
	v_add_f64 v[76:77], v[110:111], v[100:101]
	v_fma_f64 v[104:105], v[128:129], s[8:9], v[116:117]
	v_add_f64 v[106:107], v[120:121], -v[150:151]
	v_add_f64 v[108:109], v[100:101], -v[124:125]
	v_add_f64 v[110:111], v[78:79], v[122:123]
	v_fma_f64 v[96:97], v[118:119], s[16:17], v[96:97]
	v_fma_f64 v[114:115], v[128:129], s[16:17], v[98:99]
	v_add_f64 v[116:117], v[150:151], -v[120:121]
	v_fma_f64 v[98:99], v[128:129], s[10:11], v[98:99]
	v_add_f64 v[112:113], v[102:103], v[126:127]
	v_add_f64 v[120:121], v[120:121], -v[100:101]
	v_add_f64 v[106:107], v[106:107], v[108:109]
	v_add_f64 v[108:109], v[110:111], v[102:103]
	v_fma_f64 v[110:111], v[128:129], s[18:19], v[96:97]
	v_fma_f64 v[114:115], v[118:119], s[8:9], v[114:115]
	v_add_f64 v[116:117], v[116:117], v[130:131]
	v_fma_f64 v[98:99], v[118:119], s[18:19], v[98:99]
	v_add_f64 v[118:119], v[122:123], v[152:153]
	v_fma_f64 v[112:113], v[112:113], -0.5, v[78:79]
	v_fma_f64 v[96:97], v[106:107], s[20:21], v[104:105]
	v_add_f64 v[128:129], v[108:109], v[126:127]
	v_fma_f64 v[100:101], v[106:107], s[20:21], v[110:111]
	v_add_f64 v[110:111], v[150:151], -v[124:125]
	v_fma_f64 v[104:105], v[116:117], s[20:21], v[114:115]
	v_fma_f64 v[108:109], v[116:117], s[20:21], v[98:99]
	v_fma_f64 v[98:99], v[118:119], -0.5, v[78:79]
	v_fma_f64 v[106:107], v[120:121], s[16:17], v[112:113]
	v_add_f64 v[114:115], v[122:123], -v[102:103]
	v_add_f64 v[78:79], v[128:129], v[152:153]
	v_add_f64 v[116:117], v[152:153], -v[126:127]
	v_fma_f64 v[112:113], v[120:121], s[10:11], v[112:113]
	v_add_f64 v[118:119], v[72:73], v[154:155]
	v_add_f64 v[124:125], v[158:159], v[162:163]
	v_fma_f64 v[128:129], v[110:111], s[10:11], v[98:99]
	v_add_f64 v[102:103], v[102:103], -v[122:123]
	v_add_f64 v[122:123], v[126:127], -v[152:153]
	v_fma_f64 v[106:107], v[110:111], s[18:19], v[106:107]
	v_add_f64 v[114:115], v[114:115], v[116:117]
	v_fma_f64 v[112:113], v[110:111], s[8:9], v[112:113]
	v_fma_f64 v[110:111], v[110:111], s[16:17], v[98:99]
	v_add_f64 v[116:117], v[118:119], v[158:159]
	v_fma_f64 v[118:119], v[124:125], -0.5, v[72:73]
	v_add_f64 v[124:125], v[156:157], -v[168:169]
	v_fma_f64 v[126:127], v[120:121], s[18:19], v[128:129]
	v_add_f64 v[122:123], v[102:103], v[122:123]
	v_fma_f64 v[98:99], v[114:115], s[20:21], v[106:107]
	v_fma_f64 v[102:103], v[114:115], s[20:21], v[112:113]
	;; [unrolled: 1-line block ×3, first 2 shown]
	v_add_f64 v[112:113], v[154:155], v[166:167]
	v_add_f64 v[114:115], v[116:117], v[162:163]
	v_fma_f64 v[116:117], v[124:125], s[10:11], v[118:119]
	v_add_f64 v[120:121], v[160:161], -v[164:165]
	v_fma_f64 v[106:107], v[122:123], s[20:21], v[126:127]
	v_add_f64 v[126:127], v[154:155], -v[158:159]
	v_add_f64 v[128:129], v[166:167], -v[162:163]
	v_fma_f64 v[118:119], v[124:125], s[16:17], v[118:119]
	v_fma_f64 v[112:113], v[112:113], -0.5, v[72:73]
	v_fma_f64 v[110:111], v[122:123], s[20:21], v[110:111]
	v_add_f64 v[72:73], v[114:115], v[166:167]
	v_fma_f64 v[114:115], v[120:121], s[8:9], v[116:117]
	v_add_f64 v[116:117], v[74:75], v[156:157]
	v_add_f64 v[122:123], v[160:161], v[164:165]
	;; [unrolled: 1-line block ×3, first 2 shown]
	v_fma_f64 v[118:119], v[120:121], s[18:19], v[118:119]
	v_fma_f64 v[128:129], v[120:121], s[16:17], v[112:113]
	v_add_f64 v[130:131], v[158:159], -v[154:155]
	v_fma_f64 v[120:121], v[120:121], s[10:11], v[112:113]
	v_add_f64 v[138:139], v[168:169], -v[164:165]
	v_add_f64 v[134:135], v[116:117], v[160:161]
	v_fma_f64 v[122:123], v[122:123], -0.5, v[74:75]
	v_fma_f64 v[112:113], v[126:127], s[20:21], v[114:115]
	v_fma_f64 v[116:117], v[126:127], s[20:21], v[118:119]
	v_add_f64 v[126:127], v[156:157], v[168:169]
	v_fma_f64 v[114:115], v[124:125], s[8:9], v[128:129]
	v_add_f64 v[118:119], v[130:131], v[132:133]
	;; [unrolled: 2-line block ×3, first 2 shown]
	v_fma_f64 v[130:131], v[136:137], s[16:17], v[122:123]
	v_add_f64 v[132:133], v[158:159], -v[162:163]
	v_add_f64 v[134:135], v[156:157], -v[160:161]
	v_fma_f64 v[122:123], v[136:137], s[10:11], v[122:123]
	v_fma_f64 v[126:127], v[126:127], -0.5, v[74:75]
	v_fma_f64 v[120:121], v[118:119], s[20:21], v[114:115]
	v_fma_f64 v[124:125], v[118:119], s[20:21], v[124:125]
	v_add_f64 v[74:75], v[128:129], v[168:169]
	v_add_f64 v[118:119], v[2:3], v[8:9]
	v_fma_f64 v[114:115], v[132:133], s[18:19], v[130:131]
	v_add_f64 v[128:129], v[134:135], v[138:139]
	v_fma_f64 v[122:123], v[132:133], s[8:9], v[122:123]
	v_fma_f64 v[130:131], v[132:133], s[10:11], v[126:127]
	v_add_f64 v[134:135], v[160:161], -v[156:157]
	v_add_f64 v[138:139], v[164:165], -v[168:169]
	v_fma_f64 v[126:127], v[132:133], s[16:17], v[126:127]
	v_fma_f64 v[140:141], v[118:119], -0.5, v[64:65]
	v_add_f64 v[132:133], v[0:1], v[10:11]
	v_fma_f64 v[114:115], v[128:129], s[20:21], v[114:115]
	v_fma_f64 v[118:119], v[128:129], s[20:21], v[122:123]
	;; [unrolled: 1-line block ×3, first 2 shown]
	v_add_f64 v[142:143], v[6:7], -v[14:15]
	v_add_f64 v[128:129], v[134:135], v[138:139]
	v_fma_f64 v[126:127], v[136:137], s[8:9], v[126:127]
	v_add_f64 v[136:137], v[0:1], -v[2:3]
	v_add_f64 v[138:139], v[10:11], -v[8:9]
	v_add_f64 v[150:151], v[4:5], v[12:13]
	v_add_f64 v[130:131], v[4:5], -v[12:13]
	v_fma_f64 v[132:133], v[132:133], -0.5, v[64:65]
	v_fma_f64 v[134:135], v[142:143], s[10:11], v[140:141]
	v_fma_f64 v[122:123], v[128:129], s[20:21], v[122:123]
	;; [unrolled: 1-line block ×3, first 2 shown]
	v_add_f64 v[128:129], v[6:7], v[14:15]
	v_fma_f64 v[140:141], v[142:143], s[16:17], v[140:141]
	v_add_f64 v[138:139], v[136:137], v[138:139]
	v_fma_f64 v[136:137], v[150:151], -0.5, v[66:67]
	v_add_f64 v[150:151], v[0:1], -v[10:11]
	v_add_f64 v[154:155], v[2:3], -v[8:9]
	v_fma_f64 v[152:153], v[130:131], s[16:17], v[132:133]
	v_fma_f64 v[134:135], v[130:131], s[8:9], v[134:135]
	v_fma_f64 v[128:129], v[128:129], -0.5, v[66:67]
	v_fma_f64 v[140:141], v[130:131], s[18:19], v[140:141]
	v_fma_f64 v[130:131], v[130:131], s[10:11], v[132:133]
	v_add_f64 v[160:161], v[6:7], -v[4:5]
	v_fma_f64 v[132:133], v[150:151], s[16:17], v[136:137]
	v_add_f64 v[162:163], v[14:15], -v[12:13]
	;; [unrolled: 2-line block ×3, first 2 shown]
	v_add_f64 v[158:159], v[8:9], -v[10:11]
	v_fma_f64 v[164:165], v[154:155], s[10:11], v[128:129]
	v_add_f64 v[166:167], v[4:5], -v[6:7]
	v_add_f64 v[168:169], v[12:13], -v[14:15]
	v_fma_f64 v[152:153], v[142:143], s[8:9], v[152:153]
	v_fma_f64 v[128:129], v[154:155], s[16:17], v[128:129]
	;; [unrolled: 1-line block ×4, first 2 shown]
	v_add_f64 v[142:143], v[160:161], v[162:163]
	v_fma_f64 v[154:155], v[154:155], s[8:9], v[136:137]
	v_add_f64 v[156:157], v[156:157], v[158:159]
	v_fma_f64 v[158:159], v[150:151], s[18:19], v[164:165]
	;; [unrolled: 2-line block ×3, first 2 shown]
	v_fma_f64 v[128:129], v[150:151], s[8:9], v[128:129]
	v_fma_f64 v[136:137], v[138:139], s[20:21], v[134:135]
	;; [unrolled: 1-line block ×5, first 2 shown]
	buffer_store_dword v22, off, s[60:63], 0 offset:40 ; 4-byte Folded Spill
	s_nop 0
	buffer_store_dword v23, off, s[60:63], 0 offset:44 ; 4-byte Folded Spill
	buffer_store_dword v24, off, s[60:63], 0 offset:48 ; 4-byte Folded Spill
	;; [unrolled: 1-line block ×3, first 2 shown]
	v_fma_f64 v[18:19], v[160:161], s[20:21], v[158:159]
	v_fma_f64 v[20:21], v[156:157], s[20:21], v[130:131]
	;; [unrolled: 1-line block ×3, first 2 shown]
	buffer_store_dword v16, off, s[60:63], 0 offset:8 ; 4-byte Folded Spill
	s_nop 0
	buffer_store_dword v17, off, s[60:63], 0 offset:12 ; 4-byte Folded Spill
	buffer_store_dword v18, off, s[60:63], 0 offset:16 ; 4-byte Folded Spill
	;; [unrolled: 1-line block ×3, first 2 shown]
	v_mul_u32_u24_e32 v16, 0x55, v144
	v_add_u32_sdwa v16, v16, v145 dst_sel:DWORD dst_unused:UNUSED_PAD src0_sel:DWORD src1_sel:BYTE_0
	v_add_lshl_u32 v16, v236, v16, 4
	buffer_store_dword v20, off, s[60:63], 0 offset:24 ; 4-byte Folded Spill
	s_nop 0
	buffer_store_dword v21, off, s[60:63], 0 offset:28 ; 4-byte Folded Spill
	buffer_store_dword v22, off, s[60:63], 0 offset:32 ; 4-byte Folded Spill
	;; [unrolled: 1-line block ×3, first 2 shown]
	s_waitcnt vmcnt(0)
	s_barrier
	ds_write_b128 v16, v[68:71]
	ds_write_b128 v16, v[80:83] offset:272
	ds_write_b128 v16, v[88:91] offset:544
	;; [unrolled: 1-line block ×3, first 2 shown]
	buffer_store_dword v16, off, s[60:63], 0 offset:148 ; 4-byte Folded Spill
	ds_write_b128 v16, v[84:87] offset:1088
	v_mul_u32_u24_e32 v16, 0x55, v146
	v_add_u32_sdwa v16, v16, v147 dst_sel:DWORD dst_unused:UNUSED_PAD src0_sel:DWORD src1_sel:BYTE_0
	v_add_lshl_u32 v16, v236, v16, 4
	ds_write_b128 v16, v[76:79]
	ds_write_b128 v16, v[96:99] offset:272
	ds_write_b128 v16, v[104:107] offset:544
	;; [unrolled: 1-line block ×3, first 2 shown]
	buffer_store_dword v16, off, s[60:63], 0 offset:152 ; 4-byte Folded Spill
	ds_write_b128 v16, v[100:103] offset:1088
	v_mul_u32_u24_e32 v16, 0x55, v148
	v_add_u32_sdwa v16, v16, v149 dst_sel:DWORD dst_unused:UNUSED_PAD src0_sel:DWORD src1_sel:BYTE_0
	v_add_lshl_u32 v238, v236, v16, 4
	ds_write_b128 v238, v[72:75]
	ds_write_b128 v238, v[112:115] offset:272
	ds_write_b128 v238, v[120:123] offset:544
	;; [unrolled: 1-line block ×4, first 2 shown]
	s_and_saveexec_b64 s[8:9], s[0:1]
	s_cbranch_execz .LBB0_11
; %bb.10:
	v_add_f64 v[6:7], v[66:67], v[6:7]
	v_add_f64 v[0:1], v[64:65], v[0:1]
	;; [unrolled: 1-line block ×5, first 2 shown]
	buffer_load_dword v4, off, s[60:63], 0 offset:60 ; 4-byte Folded Reload
	v_add_f64 v[0:1], v[0:1], v[8:9]
	v_add_f64 v[2:3], v[2:3], v[14:15]
	;; [unrolled: 1-line block ×3, first 2 shown]
	s_waitcnt vmcnt(0)
	v_add_lshl_u32 v4, v236, v4, 4
	ds_write_b128 v4, v[136:139] offset:20672
	buffer_load_dword v5, off, s[60:63], 0 offset:8 ; 4-byte Folded Reload
	buffer_load_dword v6, off, s[60:63], 0 offset:12 ; 4-byte Folded Reload
	;; [unrolled: 1-line block ×4, first 2 shown]
	s_waitcnt vmcnt(0)
	ds_write_b128 v4, v[5:8] offset:20944
	buffer_load_dword v5, off, s[60:63], 0 offset:24 ; 4-byte Folded Reload
	buffer_load_dword v6, off, s[60:63], 0 offset:28 ; 4-byte Folded Reload
	;; [unrolled: 1-line block ×4, first 2 shown]
	s_waitcnt vmcnt(0)
	ds_write_b128 v4, v[5:8] offset:21216
	ds_write_b128 v4, v[0:3] offset:20400
	buffer_load_dword v0, off, s[60:63], 0 offset:40 ; 4-byte Folded Reload
	buffer_load_dword v1, off, s[60:63], 0 offset:44 ; 4-byte Folded Reload
	buffer_load_dword v2, off, s[60:63], 0 offset:48 ; 4-byte Folded Reload
	buffer_load_dword v3, off, s[60:63], 0 offset:52 ; 4-byte Folded Reload
	s_waitcnt vmcnt(0)
	ds_write_b128 v4, v[0:3] offset:21488
.LBB0_11:
	s_or_b64 exec, exec, s[8:9]
	v_mov_b32_e32 v65, s3
	s_movk_i32 s8, 0xf0
	v_mov_b32_e32 v64, s2
	v_mad_u64_u32 v[160:161], s[2:3], v237, s8, v[64:65]
	s_waitcnt vmcnt(0) lgkmcnt(0)
	s_barrier
	ds_read_b128 v[140:143], v255
	ds_read_b128 v[0:3], v255 offset:1360
	ds_read_b128 v[4:7], v255 offset:2720
	;; [unrolled: 1-line block ×15, first 2 shown]
	global_load_dwordx4 v[64:67], v[160:161], off offset:1136
	global_load_dwordx4 v[76:79], v[160:161], off offset:1120
	;; [unrolled: 1-line block ×4, first 2 shown]
	s_mov_b32 s2, 0x667f3bcd
	s_mov_b32 s3, 0xbfe6a09e
	;; [unrolled: 1-line block ×12, first 2 shown]
	s_waitcnt vmcnt(0) lgkmcnt(14)
	v_mul_f64 v[88:89], v[2:3], v[102:103]
	v_fma_f64 v[162:163], v[0:1], v[100:101], -v[88:89]
	global_load_dwordx4 v[88:91], v[160:161], off offset:1200
	global_load_dwordx4 v[92:95], v[160:161], off offset:1184
	;; [unrolled: 1-line block ×4, first 2 shown]
	v_mul_f64 v[0:1], v[0:1], v[102:103]
	v_fma_f64 v[0:1], v[2:3], v[100:101], v[0:1]
	s_waitcnt lgkmcnt(13)
	v_mul_f64 v[2:3], v[6:7], v[86:87]
	v_fma_f64 v[2:3], v[4:5], v[84:85], -v[2:3]
	v_mul_f64 v[4:5], v[4:5], v[86:87]
	v_fma_f64 v[4:5], v[6:7], v[84:85], v[4:5]
	s_waitcnt lgkmcnt(12)
	v_mul_f64 v[6:7], v[10:11], v[78:79]
	v_fma_f64 v[6:7], v[8:9], v[76:77], -v[6:7]
	;; [unrolled: 5-line block ×3, first 2 shown]
	v_mul_f64 v[12:13], v[12:13], v[66:67]
	v_fma_f64 v[12:13], v[14:15], v[64:65], v[12:13]
	s_waitcnt vmcnt(0) lgkmcnt(10)
	v_mul_f64 v[14:15], v[70:71], v[118:119]
	v_fma_f64 v[14:15], v[68:69], v[116:117], -v[14:15]
	v_mul_f64 v[68:69], v[68:69], v[118:119]
	v_fma_f64 v[68:69], v[70:71], v[116:117], v[68:69]
	s_waitcnt lgkmcnt(9)
	v_mul_f64 v[70:71], v[74:75], v[98:99]
	v_fma_f64 v[70:71], v[72:73], v[96:97], -v[70:71]
	v_mul_f64 v[72:73], v[72:73], v[98:99]
	v_fma_f64 v[72:73], v[74:75], v[96:97], v[72:73]
	s_waitcnt lgkmcnt(8)
	;; [unrolled: 5-line block ×3, first 2 shown]
	v_mul_f64 v[82:83], v[106:107], v[90:91]
	v_fma_f64 v[82:83], v[104:105], v[88:89], -v[82:83]
	v_mul_f64 v[104:105], v[104:105], v[90:91]
	v_add_f64 v[82:83], v[140:141], -v[82:83]
	v_fma_f64 v[164:165], v[106:107], v[88:89], v[104:105]
	global_load_dwordx4 v[104:107], v[160:161], off offset:1264
	global_load_dwordx4 v[108:111], v[160:161], off offset:1248
	;; [unrolled: 1-line block ×4, first 2 shown]
	v_fma_f64 v[140:141], v[140:141], 2.0, -v[82:83]
	s_waitcnt vmcnt(0) lgkmcnt(6)
	v_mul_f64 v[166:167], v[122:123], v[130:131]
	v_fma_f64 v[166:167], v[120:121], v[128:129], -v[166:167]
	v_mul_f64 v[120:121], v[120:121], v[130:131]
	v_add_f64 v[166:167], v[162:163], -v[166:167]
	v_fma_f64 v[168:169], v[122:123], v[128:129], v[120:121]
	s_waitcnt lgkmcnt(5)
	v_mul_f64 v[120:121], v[126:127], v[114:115]
	v_fma_f64 v[162:163], v[162:163], 2.0, -v[166:167]
	v_add_f64 v[168:169], v[0:1], -v[168:169]
	v_fma_f64 v[170:171], v[124:125], v[112:113], -v[120:121]
	v_mul_f64 v[120:121], v[124:125], v[114:115]
	v_fma_f64 v[0:1], v[0:1], 2.0, -v[168:169]
	v_fma_f64 v[172:173], v[126:127], v[112:113], v[120:121]
	s_waitcnt lgkmcnt(4)
	v_mul_f64 v[120:121], v[134:135], v[110:111]
	v_fma_f64 v[174:175], v[132:133], v[108:109], -v[120:121]
	v_mul_f64 v[120:121], v[132:133], v[110:111]
	v_fma_f64 v[176:177], v[134:135], v[108:109], v[120:121]
	s_waitcnt lgkmcnt(3)
	v_mul_f64 v[120:121], v[158:159], v[106:107]
	v_fma_f64 v[178:179], v[156:157], v[104:105], -v[120:121]
	v_mul_f64 v[120:121], v[156:157], v[106:107]
	v_fma_f64 v[156:157], v[158:159], v[104:105], v[120:121]
	global_load_dwordx4 v[120:123], v[160:161], off offset:1312
	global_load_dwordx4 v[124:127], v[160:161], off offset:1296
	;; [unrolled: 1-line block ×3, first 2 shown]
	v_add_f64 v[160:161], v[10:11], -v[178:179]
	v_add_f64 v[156:157], v[12:13], -v[156:157]
	v_fma_f64 v[10:11], v[10:11], 2.0, -v[160:161]
	v_fma_f64 v[12:13], v[12:13], 2.0, -v[156:157]
	v_add_f64 v[156:157], v[82:83], -v[156:157]
	v_add_f64 v[10:11], v[140:141], -v[10:11]
	v_fma_f64 v[82:83], v[82:83], 2.0, -v[156:157]
	v_fma_f64 v[140:141], v[140:141], 2.0, -v[10:11]
	s_waitcnt vmcnt(0) lgkmcnt(2)
	v_mul_f64 v[158:159], v[154:155], v[134:135]
	v_fma_f64 v[158:159], v[152:153], v[132:133], -v[158:159]
	v_mul_f64 v[152:153], v[152:153], v[134:135]
	v_add_f64 v[158:159], v[14:15], -v[158:159]
	v_fma_f64 v[152:153], v[154:155], v[132:133], v[152:153]
	s_waitcnt lgkmcnt(1)
	v_mul_f64 v[154:155], v[150:151], v[126:127]
	v_fma_f64 v[14:15], v[14:15], 2.0, -v[158:159]
	v_add_f64 v[152:153], v[68:69], -v[152:153]
	v_fma_f64 v[154:155], v[148:149], v[124:125], -v[154:155]
	v_mul_f64 v[148:149], v[148:149], v[126:127]
	v_add_f64 v[158:159], v[168:169], v[158:159]
	v_add_f64 v[14:15], v[162:163], -v[14:15]
	v_fma_f64 v[68:69], v[68:69], 2.0, -v[152:153]
	v_add_f64 v[154:155], v[70:71], -v[154:155]
	v_fma_f64 v[148:149], v[150:151], v[124:125], v[148:149]
	s_waitcnt lgkmcnt(0)
	v_mul_f64 v[150:151], v[146:147], v[122:123]
	v_add_f64 v[152:153], v[166:167], -v[152:153]
	v_fma_f64 v[168:169], v[168:169], 2.0, -v[158:159]
	v_fma_f64 v[162:163], v[162:163], 2.0, -v[14:15]
	v_add_f64 v[68:69], v[0:1], -v[68:69]
	v_fma_f64 v[70:71], v[70:71], 2.0, -v[154:155]
	v_add_f64 v[148:149], v[72:73], -v[148:149]
	v_fma_f64 v[150:151], v[144:145], v[120:121], -v[150:151]
	v_mul_f64 v[144:145], v[144:145], v[122:123]
	v_fma_f64 v[166:167], v[166:167], 2.0, -v[152:153]
	v_fma_f64 v[0:1], v[0:1], 2.0, -v[68:69]
	;; [unrolled: 1-line block ×3, first 2 shown]
	v_add_f64 v[150:151], v[74:75], -v[150:151]
	v_fma_f64 v[144:145], v[146:147], v[120:121], v[144:145]
	v_add_f64 v[146:147], v[142:143], -v[164:165]
	v_add_f64 v[164:165], v[2:3], -v[170:171]
	;; [unrolled: 1-line block ×5, first 2 shown]
	v_fma_f64 v[74:75], v[74:75], 2.0, -v[150:151]
	v_add_f64 v[144:145], v[80:81], -v[144:145]
	v_add_f64 v[160:161], v[146:147], v[160:161]
	v_add_f64 v[148:149], v[164:165], -v[148:149]
	v_add_f64 v[154:155], v[170:171], v[154:155]
	v_fma_f64 v[142:143], v[142:143], 2.0, -v[146:147]
	v_fma_f64 v[2:3], v[2:3], 2.0, -v[164:165]
	;; [unrolled: 1-line block ×9, first 2 shown]
	v_add_f64 v[144:145], v[172:173], -v[144:145]
	v_add_f64 v[12:13], v[142:143], -v[12:13]
	v_add_f64 v[70:71], v[2:3], -v[70:71]
	v_add_f64 v[72:73], v[4:5], -v[72:73]
	v_add_f64 v[74:75], v[6:7], -v[74:75]
	v_fma_f64 v[176:177], v[164:165], s[2:3], v[82:83]
	v_fma_f64 v[178:179], v[170:171], s[2:3], v[146:147]
	v_add_f64 v[80:81], v[8:9], -v[80:81]
	v_add_f64 v[150:151], v[174:175], v[150:151]
	v_fma_f64 v[172:173], v[172:173], 2.0, -v[144:145]
	v_fma_f64 v[142:143], v[142:143], 2.0, -v[12:13]
	;; [unrolled: 1-line block ×4, first 2 shown]
	v_fma_f64 v[170:171], v[170:171], s[2:3], v[176:177]
	v_fma_f64 v[176:177], v[164:165], s[8:9], v[178:179]
	;; [unrolled: 1-line block ×3, first 2 shown]
	v_fma_f64 v[6:7], v[6:7], 2.0, -v[74:75]
	v_fma_f64 v[8:9], v[8:9], 2.0, -v[80:81]
	;; [unrolled: 1-line block ×3, first 2 shown]
	v_add_f64 v[2:3], v[140:141], -v[2:3]
	v_add_f64 v[4:5], v[142:143], -v[4:5]
	v_fma_f64 v[82:83], v[82:83], 2.0, -v[170:171]
	v_fma_f64 v[164:165], v[146:147], 2.0, -v[176:177]
	v_fma_f64 v[146:147], v[148:149], s[8:9], v[156:157]
	v_fma_f64 v[178:179], v[148:149], s[8:9], v[178:179]
	;; [unrolled: 1-line block ×3, first 2 shown]
	v_add_f64 v[6:7], v[162:163], -v[6:7]
	v_add_f64 v[8:9], v[0:1], -v[8:9]
	v_fma_f64 v[140:141], v[140:141], 2.0, -v[2:3]
	v_fma_f64 v[142:143], v[142:143], 2.0, -v[4:5]
	v_add_f64 v[72:73], v[10:11], -v[72:73]
	v_fma_f64 v[204:205], v[154:155], s[2:3], v[146:147]
	v_fma_f64 v[154:155], v[174:175], s[2:3], v[168:169]
	;; [unrolled: 1-line block ×3, first 2 shown]
	v_fma_f64 v[146:147], v[162:163], 2.0, -v[6:7]
	v_fma_f64 v[0:1], v[0:1], 2.0, -v[8:9]
	v_add_f64 v[80:81], v[14:15], -v[80:81]
	v_fma_f64 v[162:163], v[150:151], s[8:9], v[158:159]
	v_fma_f64 v[10:11], v[10:11], 2.0, -v[72:73]
	v_fma_f64 v[180:181], v[156:157], 2.0, -v[204:205]
	v_fma_f64 v[172:173], v[172:173], s[8:9], v[154:155]
	v_fma_f64 v[154:155], v[166:167], 2.0, -v[174:175]
	v_add_f64 v[74:75], v[68:69], v[74:75]
	v_fma_f64 v[156:157], v[144:145], s[8:9], v[152:153]
	v_fma_f64 v[14:15], v[14:15], 2.0, -v[80:81]
	v_fma_f64 v[206:207], v[144:145], s[8:9], v[162:163]
	v_add_f64 v[144:145], v[140:141], -v[146:147]
	v_add_f64 v[146:147], v[142:143], -v[0:1]
	v_fma_f64 v[148:149], v[168:169], 2.0, -v[172:173]
	v_fma_f64 v[0:1], v[154:155], s[18:19], v[82:83]
	v_fma_f64 v[68:69], v[68:69], 2.0, -v[74:75]
	v_fma_f64 v[182:183], v[150:151], s[2:3], v[156:157]
	v_fma_f64 v[160:161], v[160:161], 2.0, -v[178:179]
	v_fma_f64 v[156:157], v[158:159], 2.0, -v[206:207]
	v_add_f64 v[70:71], v[12:13], v[70:71]
	v_fma_f64 v[140:141], v[140:141], 2.0, -v[144:145]
	v_fma_f64 v[150:151], v[148:149], s[18:19], v[164:165]
	v_fma_f64 v[148:149], v[148:149], s[16:17], v[0:1]
	;; [unrolled: 1-line block ×3, first 2 shown]
	v_fma_f64 v[162:163], v[152:153], 2.0, -v[182:183]
	v_fma_f64 v[142:143], v[142:143], 2.0, -v[146:147]
	;; [unrolled: 1-line block ×3, first 2 shown]
	v_fma_f64 v[150:151], v[154:155], s[10:11], v[150:151]
	v_fma_f64 v[196:197], v[82:83], 2.0, -v[148:149]
	v_fma_f64 v[152:153], v[68:69], s[2:3], v[0:1]
	v_fma_f64 v[0:1], v[162:163], s[16:17], v[180:181]
	;; [unrolled: 1-line block ×3, first 2 shown]
	v_fma_f64 v[198:199], v[164:165], 2.0, -v[150:151]
	v_fma_f64 v[200:201], v[10:11], 2.0, -v[152:153]
	v_fma_f64 v[10:11], v[156:157], s[16:17], v[160:161]
	v_fma_f64 v[156:157], v[156:157], s[18:19], v[0:1]
	;; [unrolled: 1-line block ×5, first 2 shown]
	v_fma_f64 v[192:193], v[180:181], 2.0, -v[156:157]
	v_fma_f64 v[164:165], v[172:173], s[18:19], v[0:1]
	v_fma_f64 v[0:1], v[80:81], s[8:9], v[72:73]
	v_add_f64 v[162:163], v[4:5], v[6:7]
	v_fma_f64 v[202:203], v[12:13], 2.0, -v[154:155]
	v_fma_f64 v[194:195], v[160:161], 2.0, -v[158:159]
	v_add_f64 v[160:161], v[2:3], -v[8:9]
	v_fma_f64 v[188:189], v[170:171], 2.0, -v[164:165]
	v_fma_f64 v[186:187], v[4:5], 2.0, -v[162:163]
	;; [unrolled: 1-line block ×3, first 2 shown]
	v_fma_f64 v[2:3], v[172:173], s[10:11], v[176:177]
	v_fma_f64 v[172:173], v[74:75], s[2:3], v[0:1]
	;; [unrolled: 1-line block ×6, first 2 shown]
	buffer_load_dword v0, off, s[60:63], 0  ; 4-byte Folded Reload
	v_fma_f64 v[168:169], v[72:73], 2.0, -v[172:173]
	v_fma_f64 v[190:191], v[176:177], 2.0, -v[166:167]
	v_fma_f64 v[174:175], v[80:81], s[8:9], v[2:3]
	v_fma_f64 v[2:3], v[206:207], s[20:21], v[178:179]
	v_fma_f64 v[176:177], v[204:205], 2.0, -v[180:181]
	v_fma_f64 v[170:171], v[70:71], 2.0, -v[174:175]
	v_fma_f64 v[182:183], v[182:183], s[10:11], v[2:3]
	v_fma_f64 v[178:179], v[178:179], 2.0, -v[182:183]
	s_waitcnt vmcnt(0)
	v_lshl_add_u32 v239, v237, 4, v0
	ds_write_b128 v239, v[140:143]
	ds_write_b128 v239, v[196:199] offset:1360
	ds_write_b128 v239, v[200:203] offset:2720
	;; [unrolled: 1-line block ×15, first 2 shown]
	s_waitcnt lgkmcnt(0)
	s_barrier
	s_and_saveexec_b64 s[8:9], vcc
	s_cbranch_execz .LBB0_13
; %bb.12:
	buffer_load_dword v16, off, s[60:63], 0 offset:56 ; 4-byte Folded Reload
	s_add_u32 s10, s12, 0x5500
	s_addc_u32 s11, s13, 0
	ds_read_b128 v[2:5], v239
	v_mov_b32_e32 v1, s11
	s_waitcnt vmcnt(0)
	global_load_dwordx4 v[6:9], v16, s[10:11]
	v_add_co_u32_e64 v0, s[2:3], s10, v16
	v_addc_co_u32_e64 v1, s[2:3], 0, v1, s[2:3]
	s_movk_i32 s2, 0x1000
	v_add_co_u32_e64 v14, s[2:3], s2, v0
	v_addc_co_u32_e64 v15, s[2:3], 0, v1, s[2:3]
	s_movk_i32 s2, 0x2000
	s_waitcnt vmcnt(0) lgkmcnt(0)
	v_mul_f64 v[10:11], v[4:5], v[8:9]
	v_fma_f64 v[10:11], v[2:3], v[6:7], -v[10:11]
	v_mul_f64 v[2:3], v[2:3], v[8:9]
	v_fma_f64 v[12:13], v[4:5], v[6:7], v[2:3]
	global_load_dwordx4 v[6:9], v16, s[10:11] offset:1280
	ds_read_b128 v[2:5], v239 offset:1280
	ds_write_b128 v239, v[10:13]
	s_waitcnt vmcnt(0) lgkmcnt(1)
	v_mul_f64 v[10:11], v[4:5], v[8:9]
	v_fma_f64 v[10:11], v[2:3], v[6:7], -v[10:11]
	v_mul_f64 v[2:3], v[2:3], v[8:9]
	v_fma_f64 v[12:13], v[4:5], v[6:7], v[2:3]
	global_load_dwordx4 v[6:9], v16, s[10:11] offset:2560
	ds_read_b128 v[2:5], v239 offset:2560
	ds_write_b128 v239, v[10:13] offset:1280
	s_waitcnt vmcnt(0) lgkmcnt(1)
	v_mul_f64 v[10:11], v[4:5], v[8:9]
	v_fma_f64 v[10:11], v[2:3], v[6:7], -v[10:11]
	v_mul_f64 v[2:3], v[2:3], v[8:9]
	v_fma_f64 v[12:13], v[4:5], v[6:7], v[2:3]
	global_load_dwordx4 v[6:9], v16, s[10:11] offset:3840
	ds_read_b128 v[2:5], v239 offset:3840
	ds_write_b128 v239, v[10:13] offset:2560
	s_waitcnt vmcnt(0) lgkmcnt(1)
	v_mul_f64 v[10:11], v[4:5], v[8:9]
	v_fma_f64 v[10:11], v[2:3], v[6:7], -v[10:11]
	v_mul_f64 v[2:3], v[2:3], v[8:9]
	v_fma_f64 v[12:13], v[4:5], v[6:7], v[2:3]
	global_load_dwordx4 v[6:9], v[14:15], off offset:1024
	ds_read_b128 v[2:5], v239 offset:5120
	ds_write_b128 v239, v[10:13] offset:3840
	s_waitcnt vmcnt(0) lgkmcnt(1)
	v_mul_f64 v[10:11], v[4:5], v[8:9]
	v_fma_f64 v[10:11], v[2:3], v[6:7], -v[10:11]
	v_mul_f64 v[2:3], v[2:3], v[8:9]
	v_fma_f64 v[12:13], v[4:5], v[6:7], v[2:3]
	global_load_dwordx4 v[6:9], v[14:15], off offset:2304
	;; [unrolled: 8-line block ×3, first 2 shown]
	ds_read_b128 v[2:5], v239 offset:7680
	v_add_co_u32_e64 v14, s[2:3], s2, v0
	v_addc_co_u32_e64 v15, s[2:3], 0, v1, s[2:3]
	s_movk_i32 s2, 0x3000
	ds_write_b128 v239, v[10:13] offset:6400
	s_waitcnt vmcnt(0) lgkmcnt(1)
	v_mul_f64 v[10:11], v[4:5], v[8:9]
	v_fma_f64 v[10:11], v[2:3], v[6:7], -v[10:11]
	v_mul_f64 v[2:3], v[2:3], v[8:9]
	v_fma_f64 v[12:13], v[4:5], v[6:7], v[2:3]
	global_load_dwordx4 v[6:9], v[14:15], off offset:768
	ds_read_b128 v[2:5], v239 offset:8960
	ds_write_b128 v239, v[10:13] offset:7680
	s_waitcnt vmcnt(0) lgkmcnt(1)
	v_mul_f64 v[10:11], v[4:5], v[8:9]
	v_fma_f64 v[10:11], v[2:3], v[6:7], -v[10:11]
	v_mul_f64 v[2:3], v[2:3], v[8:9]
	v_fma_f64 v[12:13], v[4:5], v[6:7], v[2:3]
	v_or_b32_e32 v6, 0x2800, v16
	global_load_dwordx4 v[6:9], v6, s[10:11]
	ds_read_b128 v[2:5], v239 offset:10240
	ds_write_b128 v239, v[10:13] offset:8960
	s_waitcnt vmcnt(0) lgkmcnt(1)
	v_mul_f64 v[10:11], v[4:5], v[8:9]
	v_fma_f64 v[10:11], v[2:3], v[6:7], -v[10:11]
	v_mul_f64 v[2:3], v[2:3], v[8:9]
	v_fma_f64 v[12:13], v[4:5], v[6:7], v[2:3]
	global_load_dwordx4 v[6:9], v[14:15], off offset:3328
	ds_read_b128 v[2:5], v239 offset:11520
	v_add_co_u32_e64 v14, s[2:3], s2, v0
	v_addc_co_u32_e64 v15, s[2:3], 0, v1, s[2:3]
	s_movk_i32 s2, 0x4000
	ds_write_b128 v239, v[10:13] offset:10240
	s_waitcnt vmcnt(0) lgkmcnt(1)
	v_mul_f64 v[10:11], v[4:5], v[8:9]
	v_fma_f64 v[10:11], v[2:3], v[6:7], -v[10:11]
	v_mul_f64 v[2:3], v[2:3], v[8:9]
	v_fma_f64 v[12:13], v[4:5], v[6:7], v[2:3]
	global_load_dwordx4 v[6:9], v[14:15], off offset:512
	ds_read_b128 v[2:5], v239 offset:12800
	ds_write_b128 v239, v[10:13] offset:11520
	s_waitcnt vmcnt(0) lgkmcnt(1)
	v_mul_f64 v[10:11], v[4:5], v[8:9]
	v_fma_f64 v[10:11], v[2:3], v[6:7], -v[10:11]
	v_mul_f64 v[2:3], v[2:3], v[8:9]
	v_fma_f64 v[12:13], v[4:5], v[6:7], v[2:3]
	global_load_dwordx4 v[6:9], v[14:15], off offset:1792
	ds_read_b128 v[2:5], v239 offset:14080
	;; [unrolled: 8-line block ×3, first 2 shown]
	ds_write_b128 v239, v[10:13] offset:14080
	s_waitcnt vmcnt(0) lgkmcnt(1)
	v_mul_f64 v[10:11], v[4:5], v[8:9]
	v_fma_f64 v[10:11], v[2:3], v[6:7], -v[10:11]
	v_mul_f64 v[2:3], v[2:3], v[8:9]
	v_fma_f64 v[12:13], v[4:5], v[6:7], v[2:3]
	ds_read_b128 v[2:5], v239 offset:16640
	ds_write_b128 v239, v[10:13] offset:15360
	v_add_co_u32_e64 v12, s[2:3], s2, v0
	v_addc_co_u32_e64 v13, s[2:3], 0, v1, s[2:3]
	global_load_dwordx4 v[6:9], v[12:13], off offset:256
	s_waitcnt vmcnt(0) lgkmcnt(1)
	v_mul_f64 v[0:1], v[4:5], v[8:9]
	v_fma_f64 v[0:1], v[2:3], v[6:7], -v[0:1]
	v_mul_f64 v[2:3], v[2:3], v[8:9]
	v_fma_f64 v[2:3], v[4:5], v[6:7], v[2:3]
	global_load_dwordx4 v[4:7], v[12:13], off offset:1536
	ds_write_b128 v239, v[0:3] offset:16640
	ds_read_b128 v[0:3], v239 offset:17920
	s_waitcnt vmcnt(0) lgkmcnt(0)
	v_mul_f64 v[8:9], v[2:3], v[6:7]
	v_fma_f64 v[8:9], v[0:1], v[4:5], -v[8:9]
	v_mul_f64 v[0:1], v[0:1], v[6:7]
	v_fma_f64 v[10:11], v[2:3], v[4:5], v[0:1]
	global_load_dwordx4 v[4:7], v[12:13], off offset:2816
	ds_read_b128 v[0:3], v239 offset:19200
	ds_write_b128 v239, v[8:11] offset:17920
	s_waitcnt vmcnt(0) lgkmcnt(1)
	v_mul_f64 v[8:9], v[2:3], v[6:7]
	v_fma_f64 v[8:9], v[0:1], v[4:5], -v[8:9]
	v_mul_f64 v[0:1], v[0:1], v[6:7]
	v_fma_f64 v[10:11], v[2:3], v[4:5], v[0:1]
	v_or_b32_e32 v4, 0x5000, v16
	global_load_dwordx4 v[4:7], v4, s[10:11]
	ds_read_b128 v[0:3], v239 offset:20480
	ds_write_b128 v239, v[8:11] offset:19200
	s_waitcnt vmcnt(0) lgkmcnt(1)
	v_mul_f64 v[8:9], v[2:3], v[6:7]
	v_fma_f64 v[8:9], v[0:1], v[4:5], -v[8:9]
	v_mul_f64 v[0:1], v[0:1], v[6:7]
	v_fma_f64 v[10:11], v[2:3], v[4:5], v[0:1]
	ds_write_b128 v239, v[8:11] offset:20480
.LBB0_13:
	s_or_b64 exec, exec, s[8:9]
	s_waitcnt lgkmcnt(0)
	s_barrier
	s_and_saveexec_b64 s[2:3], vcc
	s_cbranch_execz .LBB0_15
; %bb.14:
	ds_read_b128 v[140:143], v239
	ds_read_b128 v[196:199], v239 offset:1280
	ds_read_b128 v[200:203], v239 offset:2560
	;; [unrolled: 1-line block ×16, first 2 shown]
.LBB0_15:
	s_or_b64 exec, exec, s[2:3]
	s_waitcnt lgkmcnt(1)
	v_add_f64 v[216:217], v[182:183], v[202:203]
	s_mov_b32 s10, 0x3259b75e
	s_mov_b32 s11, 0x3fb79ee6
	s_waitcnt lgkmcnt(0)
	v_add_f64 v[226:227], v[198:199], -v[138:139]
	s_mov_b32 s18, 0x5d8e7cdc
	s_mov_b32 s19, 0xbfd71e95
	v_add_f64 v[251:252], v[136:137], v[196:197]
	v_add_f64 v[247:248], v[138:139], v[198:199]
	v_mul_f64 v[10:11], v[216:217], s[10:11]
	v_add_f64 v[228:229], v[202:203], -v[182:183]
	s_mov_b32 s2, 0x370991
	v_mul_f64 v[16:17], v[226:227], s[18:19]
	s_mov_b32 s16, 0x2a9d6da3
	s_mov_b32 s3, 0x3fedd6d0
	;; [unrolled: 1-line block ×3, first 2 shown]
	v_add_f64 v[249:250], v[196:197], -v[136:137]
	buffer_store_dword v10, off, s[60:63], 0 offset:252 ; 4-byte Folded Spill
	s_nop 0
	buffer_store_dword v11, off, s[60:63], 0 offset:256 ; 4-byte Folded Spill
	v_mul_f64 v[18:19], v[247:248], s[2:3]
	v_add_f64 v[253:254], v[180:181], v[200:201]
	v_fma_f64 v[0:1], v[251:252], s[2:3], -v[16:17]
	v_mul_f64 v[22:23], v[228:229], s[16:17]
	s_mov_b32 s8, 0x75d4884
	s_mov_b32 s9, 0x3fe7a5f6
	v_mul_f64 v[20:21], v[226:227], s[16:17]
	v_add_f64 v[212:213], v[200:201], -v[180:181]
	v_fma_f64 v[2:3], v[249:250], s[18:19], v[18:19]
	v_mul_f64 v[24:25], v[216:217], s[8:9]
	v_add_f64 v[0:1], v[140:141], v[0:1]
	v_fma_f64 v[8:9], v[253:254], s[8:9], -v[22:23]
	s_mov_b32 s22, 0xeb564b22
	s_mov_b32 s23, 0xbfefdd0d
	v_fma_f64 v[4:5], v[251:252], s[8:9], -v[20:21]
	v_mul_f64 v[26:27], v[228:229], s[22:23]
	v_add_f64 v[2:3], v[142:143], v[2:3]
	v_add_f64 v[220:221], v[174:175], v[194:195]
	s_mov_b32 s26, 0x6ed5f1bb
	v_add_f64 v[0:1], v[8:9], v[0:1]
	v_fma_f64 v[8:9], v[212:213], s[16:17], v[24:25]
	s_mov_b32 s27, 0xbfe348c8
	v_add_f64 v[4:5], v[140:141], v[4:5]
	v_mul_f64 v[44:45], v[247:248], s[8:9]
	v_add_f64 v[68:69], v[194:195], -v[174:175]
	s_mov_b32 s28, 0x7c9e640b
	s_mov_b32 s29, 0xbfeca52d
	v_add_f64 v[245:246], v[172:173], v[192:193]
	v_add_f64 v[2:3], v[8:9], v[2:3]
	v_fma_f64 v[8:9], v[253:254], s[10:11], -v[26:27]
	s_mov_b32 s20, 0x2b2883cd
	v_fma_f64 v[6:7], v[249:250], s[16:17], v[44:45]
	v_mul_f64 v[28:29], v[68:69], s[28:29]
	s_mov_b32 s21, 0x3fdc86fa
	v_add_f64 v[214:215], v[192:193], -v[172:173]
	v_mul_f64 v[30:31], v[220:221], s[20:21]
	s_mov_b32 s24, 0x6c9a05f6
	v_add_f64 v[4:5], v[8:9], v[4:5]
	s_mov_b32 s25, 0xbfe9895b
	v_add_f64 v[6:7], v[142:143], v[6:7]
	v_mul_f64 v[46:47], v[68:69], s[24:25]
	v_add_f64 v[80:81], v[186:187], -v[166:167]
	v_add_f64 v[230:231], v[166:167], v[186:187]
	v_add_f64 v[218:219], v[164:165], v[184:185]
	v_add_f64 v[224:225], v[184:185], -v[164:165]
	s_mov_b32 s49, 0xbfc7851a
	s_mov_b32 s48, 0xacd6c6b4
	;; [unrolled: 1-line block ×6, first 2 shown]
	v_add_f64 v[70:71], v[162:163], v[190:191]
	s_mov_b32 s36, 0xc61f0d01
	s_mov_b32 s37, 0xbfd183b1
	v_add_f64 v[222:223], v[160:161], v[188:189]
	v_add_f64 v[234:235], v[188:189], -v[160:161]
	s_mov_b32 s42, 0x4363dd80
	s_mov_b32 s43, 0x3fe0d888
	;; [unrolled: 1-line block ×3, first 2 shown]
	v_mul_f64 v[12:13], v[70:71], s[36:37]
	s_mov_b32 s35, 0xbfeb34fa
	v_add_f64 v[14:15], v[170:171], -v[158:159]
	v_add_f64 v[232:233], v[168:169], v[156:157]
	v_add_f64 v[72:73], v[168:169], -v[156:157]
	s_mov_b32 s45, 0x3feec746
	s_mov_b32 s44, s40
	v_add_f64 v[236:237], v[178:179], -v[154:155]
	s_mov_b32 s47, 0xbfe0d888
	s_mov_b32 s46, s42
	v_add_f64 v[82:83], v[154:155], v[178:179]
	s_mov_b32 s50, s28
	s_mov_b32 s53, 0x3fd71e95
	;; [unrolled: 1-line block ×3, first 2 shown]
	v_mul_f64 v[204:205], v[236:237], s[46:47]
	v_mul_f64 v[206:207], v[82:83], s[34:35]
	v_fma_f64 v[8:9], v[212:213], s[22:23], v[10:11]
	v_mul_f64 v[10:11], v[220:221], s[26:27]
	buffer_store_dword v10, off, s[60:63], 0 offset:268 ; 4-byte Folded Spill
	s_nop 0
	buffer_store_dword v11, off, s[60:63], 0 offset:272 ; 4-byte Folded Spill
	v_add_f64 v[6:7], v[8:9], v[6:7]
	v_fma_f64 v[8:9], v[245:246], s[20:21], -v[28:29]
	v_add_f64 v[0:1], v[8:9], v[0:1]
	v_fma_f64 v[8:9], v[214:215], s[28:29], v[30:31]
	v_add_f64 v[2:3], v[8:9], v[2:3]
	v_fma_f64 v[8:9], v[245:246], s[26:27], -v[46:47]
	v_add_f64 v[4:5], v[8:9], v[4:5]
	v_fma_f64 v[8:9], v[214:215], s[24:25], v[10:11]
	v_mul_f64 v[10:11], v[230:231], s[10:11]
	v_add_f64 v[6:7], v[8:9], v[6:7]
	v_mul_f64 v[8:9], v[80:81], s[22:23]
	buffer_store_dword v8, off, s[60:63], 0 offset:236 ; 4-byte Folded Spill
	s_nop 0
	buffer_store_dword v9, off, s[60:63], 0 offset:240 ; 4-byte Folded Spill
	buffer_store_dword v10, off, s[60:63], 0 offset:244 ; 4-byte Folded Spill
	s_nop 0
	buffer_store_dword v11, off, s[60:63], 0 offset:248 ; 4-byte Folded Spill
	v_fma_f64 v[8:9], v[218:219], s[10:11], -v[8:9]
	v_add_f64 v[0:1], v[8:9], v[0:1]
	v_fma_f64 v[8:9], v[224:225], s[22:23], v[10:11]
	v_mul_f64 v[10:11], v[230:231], s[30:31]
	v_add_f64 v[2:3], v[8:9], v[2:3]
	v_mul_f64 v[8:9], v[80:81], s[48:49]
	buffer_store_dword v8, off, s[60:63], 0 offset:260 ; 4-byte Folded Spill
	s_nop 0
	buffer_store_dword v9, off, s[60:63], 0 offset:264 ; 4-byte Folded Spill
	buffer_store_dword v10, off, s[60:63], 0 offset:300 ; 4-byte Folded Spill
	s_nop 0
	buffer_store_dword v11, off, s[60:63], 0 offset:304 ; 4-byte Folded Spill
	v_fma_f64 v[8:9], v[218:219], s[30:31], -v[8:9]
	v_add_f64 v[4:5], v[8:9], v[4:5]
	v_fma_f64 v[8:9], v[224:225], s[48:49], v[10:11]
	v_add_f64 v[6:7], v[8:9], v[6:7]
	v_add_f64 v[8:9], v[190:191], -v[162:163]
	v_mul_f64 v[10:11], v[8:9], s[40:41]
	buffer_store_dword v10, off, s[60:63], 0 offset:276 ; 4-byte Folded Spill
	s_nop 0
	buffer_store_dword v11, off, s[60:63], 0 offset:280 ; 4-byte Folded Spill
	buffer_store_dword v12, off, s[60:63], 0 offset:284 ; 4-byte Folded Spill
	s_nop 0
	buffer_store_dword v13, off, s[60:63], 0 offset:288 ; 4-byte Folded Spill
	v_fma_f64 v[10:11], v[222:223], s[36:37], -v[10:11]
	v_add_f64 v[10:11], v[10:11], v[0:1]
	v_fma_f64 v[0:1], v[234:235], s[40:41], v[12:13]
	v_mul_f64 v[12:13], v[70:71], s[34:35]
	v_add_f64 v[2:3], v[0:1], v[2:3]
	v_mul_f64 v[0:1], v[8:9], s[42:43]
	buffer_store_dword v0, off, s[60:63], 0 offset:292 ; 4-byte Folded Spill
	s_nop 0
	buffer_store_dword v1, off, s[60:63], 0 offset:296 ; 4-byte Folded Spill
	buffer_store_dword v12, off, s[60:63], 0 offset:332 ; 4-byte Folded Spill
	s_nop 0
	buffer_store_dword v13, off, s[60:63], 0 offset:336 ; 4-byte Folded Spill
	v_fma_f64 v[0:1], v[222:223], s[34:35], -v[0:1]
	v_add_f64 v[4:5], v[0:1], v[4:5]
	v_fma_f64 v[0:1], v[234:235], s[42:43], v[12:13]
	v_mul_f64 v[12:13], v[14:15], s[24:25]
	buffer_store_dword v12, off, s[60:63], 0 offset:308 ; 4-byte Folded Spill
	s_nop 0
	buffer_store_dword v13, off, s[60:63], 0 offset:312 ; 4-byte Folded Spill
	v_add_f64 v[6:7], v[0:1], v[6:7]
	v_add_f64 v[0:1], v[170:171], v[158:159]
	v_mul_f64 v[74:75], v[0:1], s[26:27]
	buffer_store_dword v74, off, s[60:63], 0 offset:316 ; 4-byte Folded Spill
	s_nop 0
	buffer_store_dword v75, off, s[60:63], 0 offset:320 ; 4-byte Folded Spill
	v_fma_f64 v[12:13], v[232:233], s[26:27], -v[12:13]
	v_add_f64 v[10:11], v[12:13], v[10:11]
	v_fma_f64 v[12:13], v[72:73], s[24:25], v[74:75]
	v_mul_f64 v[74:75], v[0:1], s[36:37]
	v_add_f64 v[12:13], v[12:13], v[2:3]
	v_mul_f64 v[2:3], v[14:15], s[44:45]
	buffer_store_dword v2, off, s[60:63], 0 offset:324 ; 4-byte Folded Spill
	s_nop 0
	buffer_store_dword v3, off, s[60:63], 0 offset:328 ; 4-byte Folded Spill
	buffer_store_dword v74, off, s[60:63], 0 offset:364 ; 4-byte Folded Spill
	s_nop 0
	buffer_store_dword v75, off, s[60:63], 0 offset:368 ; 4-byte Folded Spill
	;; [unrolled: 3-line block ×4, first 2 shown]
	v_fma_f64 v[2:3], v[232:233], s[36:37], -v[2:3]
	v_add_f64 v[4:5], v[2:3], v[4:5]
	v_fma_f64 v[2:3], v[72:73], s[44:45], v[74:75]
	v_add_f64 v[74:75], v[152:153], v[176:177]
	v_add_f64 v[6:7], v[2:3], v[6:7]
	v_add_f64 v[2:3], v[176:177], -v[152:153]
	v_fma_f64 v[204:205], v[74:75], s[34:35], -v[204:205]
	v_add_f64 v[204:205], v[204:205], v[10:11]
	v_fma_f64 v[10:11], v[2:3], s[46:47], v[206:207]
	v_add_f64 v[206:207], v[10:11], v[12:13]
	v_mul_f64 v[10:11], v[236:237], s[50:51]
	v_mul_f64 v[12:13], v[82:83], s[20:21]
	buffer_store_dword v10, off, s[60:63], 0 offset:356 ; 4-byte Folded Spill
	s_nop 0
	buffer_store_dword v11, off, s[60:63], 0 offset:360 ; 4-byte Folded Spill
	buffer_store_dword v12, off, s[60:63], 0 offset:396 ; 4-byte Folded Spill
	s_nop 0
	buffer_store_dword v13, off, s[60:63], 0 offset:400 ; 4-byte Folded Spill
	v_fma_f64 v[10:11], v[74:75], s[20:21], -v[10:11]
	v_add_f64 v[240:241], v[10:11], v[4:5]
	v_fma_f64 v[4:5], v[2:3], s[50:51], v[12:13]
	v_add_f64 v[12:13], v[146:147], -v[150:151]
	v_add_f64 v[10:11], v[144:145], -v[148:149]
	v_add_f64 v[242:243], v[4:5], v[6:7]
	v_add_f64 v[6:7], v[150:151], v[146:147]
	v_mul_f64 v[208:209], v[12:13], s[48:49]
	buffer_store_dword v208, off, s[60:63], 0 offset:372 ; 4-byte Folded Spill
	s_nop 0
	buffer_store_dword v209, off, s[60:63], 0 offset:376 ; 4-byte Folded Spill
	v_mul_f64 v[210:211], v[6:7], s[30:31]
	buffer_store_dword v210, off, s[60:63], 0 offset:380 ; 4-byte Folded Spill
	s_nop 0
	buffer_store_dword v211, off, s[60:63], 0 offset:384 ; 4-byte Folded Spill
	v_add_f64 v[4:5], v[148:149], v[144:145]
	v_fma_f64 v[208:209], v[4:5], s[30:31], -v[208:209]
	v_add_f64 v[208:209], v[208:209], v[204:205]
	v_fma_f64 v[204:205], v[10:11], s[48:49], v[210:211]
	v_add_f64 v[210:211], v[204:205], v[206:207]
	v_mul_f64 v[204:205], v[12:13], s[52:53]
	v_mul_f64 v[206:207], v[6:7], s[2:3]
	buffer_store_dword v204, off, s[60:63], 0 offset:388 ; 4-byte Folded Spill
	s_nop 0
	buffer_store_dword v205, off, s[60:63], 0 offset:392 ; 4-byte Folded Spill
	buffer_store_dword v206, off, s[60:63], 0 offset:404 ; 4-byte Folded Spill
	s_nop 0
	buffer_store_dword v207, off, s[60:63], 0 offset:408 ; 4-byte Folded Spill
	s_waitcnt vmcnt(0)
	s_barrier
	v_fma_f64 v[204:205], v[4:5], s[2:3], -v[204:205]
	v_fma_f64 v[206:207], v[10:11], s[52:53], v[206:207]
	v_add_f64 v[204:205], v[204:205], v[240:241]
	v_add_f64 v[206:207], v[206:207], v[242:243]
	s_and_saveexec_b64 s[38:39], vcc
	s_cbranch_execz .LBB0_17
; %bb.16:
	v_mul_f64 v[240:241], v[249:250], s[48:49]
	v_mul_f64 v[242:243], v[226:227], s[48:49]
	buffer_store_dword v16, off, s[60:63], 0 offset:500 ; 4-byte Folded Spill
	s_nop 0
	buffer_store_dword v17, off, s[60:63], 0 offset:504 ; 4-byte Folded Spill
	buffer_store_dword v18, off, s[60:63], 0 offset:532 ; 4-byte Folded Spill
	s_nop 0
	buffer_store_dword v19, off, s[60:63], 0 offset:536 ; 4-byte Folded Spill
	buffer_store_dword v20, off, s[60:63], 0 offset:508 ; 4-byte Folded Spill
	s_nop 0
	buffer_store_dword v21, off, s[60:63], 0 offset:512 ; 4-byte Folded Spill
	buffer_store_dword v22, off, s[60:63], 0 offset:484 ; 4-byte Folded Spill
	s_nop 0
	buffer_store_dword v23, off, s[60:63], 0 offset:488 ; 4-byte Folded Spill
	buffer_store_dword v24, off, s[60:63], 0 offset:516 ; 4-byte Folded Spill
	s_nop 0
	buffer_store_dword v25, off, s[60:63], 0 offset:520 ; 4-byte Folded Spill
	buffer_store_dword v26, off, s[60:63], 0 offset:524 ; 4-byte Folded Spill
	s_nop 0
	buffer_store_dword v27, off, s[60:63], 0 offset:528 ; 4-byte Folded Spill
	buffer_store_dword v28, off, s[60:63], 0 offset:476 ; 4-byte Folded Spill
	s_nop 0
	buffer_store_dword v29, off, s[60:63], 0 offset:480 ; 4-byte Folded Spill
	v_mul_f64 v[20:21], v[212:213], s[52:53]
	v_fma_f64 v[24:25], v[247:248], s[30:31], v[240:241]
	v_mul_f64 v[26:27], v[228:229], s[52:53]
	v_fma_f64 v[28:29], v[251:252], s[30:31], -v[242:243]
	buffer_store_dword v30, off, s[60:63], 0 offset:492 ; 4-byte Folded Spill
	s_nop 0
	buffer_store_dword v31, off, s[60:63], 0 offset:496 ; 4-byte Folded Spill
	buffer_store_dword v32, off, s[60:63], 0 offset:412 ; 4-byte Folded Spill
	s_nop 0
	buffer_store_dword v33, off, s[60:63], 0 offset:416 ; 4-byte Folded Spill
	buffer_store_dword v34, off, s[60:63], 0 offset:420 ; 4-byte Folded Spill
	;; [unrolled: 1-line block ×4, first 2 shown]
	s_nop 0
	buffer_store_dword v37, off, s[60:63], 0 offset:432 ; 4-byte Folded Spill
	buffer_store_dword v38, off, s[60:63], 0 offset:436 ; 4-byte Folded Spill
	;; [unrolled: 1-line block ×3, first 2 shown]
	v_mul_f64 v[30:31], v[214:215], s[46:47]
	v_fma_f64 v[32:33], v[216:217], s[2:3], v[20:21]
	v_fma_f64 v[34:35], v[247:248], s[30:31], -v[240:241]
	v_add_f64 v[24:25], v[142:143], v[24:25]
	v_mul_f64 v[240:241], v[68:69], s[46:47]
	v_fma_f64 v[36:37], v[253:254], s[2:3], -v[26:27]
	v_add_f64 v[28:29], v[140:141], v[28:29]
	s_mov_b32 s55, 0x3fe58eea
	s_mov_b32 s54, s16
	buffer_store_dword v40, off, s[60:63], 0 offset:444 ; 4-byte Folded Spill
	s_nop 0
	buffer_store_dword v41, off, s[60:63], 0 offset:448 ; 4-byte Folded Spill
	buffer_store_dword v42, off, s[60:63], 0 offset:452 ; 4-byte Folded Spill
	;; [unrolled: 1-line block ×3, first 2 shown]
	v_mul_f64 v[38:39], v[224:225], s[54:55]
	v_fma_f64 v[40:41], v[220:221], s[34:35], v[30:31]
	v_fma_f64 v[20:21], v[216:217], s[2:3], -v[20:21]
	v_add_f64 v[34:35], v[142:143], v[34:35]
	v_add_f64 v[24:25], v[32:33], v[24:25]
	v_mul_f64 v[32:33], v[80:81], s[54:55]
	v_fma_f64 v[42:43], v[245:246], s[34:35], -v[240:241]
	v_add_f64 v[28:29], v[36:37], v[28:29]
	buffer_store_dword v44, off, s[60:63], 0 offset:564 ; 4-byte Folded Spill
	s_nop 0
	buffer_store_dword v45, off, s[60:63], 0 offset:568 ; 4-byte Folded Spill
	v_mul_f64 v[22:23], v[234:235], s[24:25]
	v_fma_f64 v[30:31], v[220:221], s[34:35], -v[30:31]
	v_fma_f64 v[44:45], v[230:231], s[8:9], v[38:39]
	v_add_f64 v[20:21], v[20:21], v[34:35]
	v_add_f64 v[24:25], v[40:41], v[24:25]
	v_mul_f64 v[34:35], v[8:9], s[24:25]
	v_fma_f64 v[40:41], v[218:219], s[8:9], -v[32:33]
	v_add_f64 v[28:29], v[42:43], v[28:29]
	buffer_store_dword v46, off, s[60:63], 0 offset:556 ; 4-byte Folded Spill
	s_nop 0
	buffer_store_dword v47, off, s[60:63], 0 offset:560 ; 4-byte Folded Spill
	v_mul_f64 v[18:19], v[72:73], s[50:51]
	v_mul_f64 v[42:43], v[14:15], s[50:51]
	v_fma_f64 v[46:47], v[70:71], s[26:27], v[22:23]
	v_fma_f64 v[38:39], v[230:231], s[8:9], -v[38:39]
	v_add_f64 v[20:21], v[30:31], v[20:21]
	v_add_f64 v[24:25], v[44:45], v[24:25]
	v_fma_f64 v[44:45], v[222:223], s[26:27], -v[34:35]
	v_add_f64 v[28:29], v[40:41], v[28:29]
	v_mul_f64 v[16:17], v[2:3], s[40:41]
	v_mul_f64 v[36:37], v[236:237], s[40:41]
	v_fma_f64 v[40:41], v[0:1], s[20:21], v[18:19]
	v_fma_f64 v[22:23], v[70:71], s[26:27], -v[22:23]
	v_add_f64 v[20:21], v[38:39], v[20:21]
	v_add_f64 v[24:25], v[46:47], v[24:25]
	v_fma_f64 v[46:47], v[232:233], s[20:21], -v[42:43]
	v_add_f64 v[28:29], v[44:45], v[28:29]
	v_fma_f64 v[242:243], v[251:252], s[30:31], v[242:243]
	s_mov_b32 s59, 0x3fefdd0d
	s_mov_b32 s58, s22
	v_mul_f64 v[30:31], v[10:11], s[58:59]
	v_fma_f64 v[38:39], v[82:83], s[36:37], v[16:17]
	v_fma_f64 v[18:19], v[0:1], s[20:21], -v[18:19]
	v_add_f64 v[20:21], v[22:23], v[20:21]
	v_add_f64 v[22:23], v[40:41], v[24:25]
	v_mul_f64 v[24:25], v[12:13], s[58:59]
	v_fma_f64 v[40:41], v[74:75], s[36:37], -v[36:37]
	v_add_f64 v[28:29], v[46:47], v[28:29]
	v_fma_f64 v[26:27], v[253:254], s[2:3], v[26:27]
	v_add_f64 v[44:45], v[140:141], v[242:243]
	v_fma_f64 v[46:47], v[6:7], s[10:11], v[30:31]
	v_fma_f64 v[16:17], v[82:83], s[36:37], -v[16:17]
	v_add_f64 v[18:19], v[18:19], v[20:21]
	v_add_f64 v[20:21], v[38:39], v[22:23]
	v_fma_f64 v[22:23], v[4:5], s[10:11], -v[24:25]
	v_add_f64 v[28:29], v[40:41], v[28:29]
	v_fma_f64 v[240:241], v[245:246], s[34:35], v[240:241]
	v_add_f64 v[26:27], v[26:27], v[44:45]
	v_fma_f64 v[30:31], v[6:7], s[10:11], -v[30:31]
	v_fma_f64 v[32:33], v[218:219], s[8:9], v[32:33]
	v_add_f64 v[16:17], v[16:17], v[18:19]
	v_add_f64 v[20:21], v[46:47], v[20:21]
	v_mul_f64 v[38:39], v[249:250], s[46:47]
	v_add_f64 v[18:19], v[22:23], v[28:29]
	buffer_store_dword v18, off, s[60:63], 0 offset:540 ; 4-byte Folded Spill
	s_nop 0
	buffer_store_dword v19, off, s[60:63], 0 offset:544 ; 4-byte Folded Spill
	buffer_store_dword v20, off, s[60:63], 0 offset:548 ; 4-byte Folded Spill
	;; [unrolled: 1-line block ×3, first 2 shown]
	v_add_f64 v[26:27], v[240:241], v[26:27]
	v_fma_f64 v[18:19], v[222:223], s[26:27], v[34:35]
	v_mul_f64 v[20:21], v[212:213], s[50:51]
	v_fma_f64 v[22:23], v[247:248], s[34:35], v[38:39]
	v_add_f64 v[54:55], v[30:31], v[16:17]
	v_mul_f64 v[16:17], v[226:227], s[46:47]
	v_fma_f64 v[28:29], v[74:75], s[36:37], v[36:37]
	s_mov_b32 s57, 0x3fe9895b
	v_add_f64 v[26:27], v[32:33], v[26:27]
	v_mul_f64 v[32:33], v[214:215], s[22:23]
	v_fma_f64 v[34:35], v[216:217], s[20:21], v[20:21]
	v_add_f64 v[22:23], v[142:143], v[22:23]
	s_mov_b32 s56, s24
	v_fma_f64 v[36:37], v[251:252], s[34:35], -v[16:17]
	v_fma_f64 v[30:31], v[232:233], s[20:21], v[42:43]
	v_mul_f64 v[40:41], v[224:225], s[56:57]
	v_add_f64 v[18:19], v[18:19], v[26:27]
	v_mul_f64 v[26:27], v[228:229], s[50:51]
	v_fma_f64 v[42:43], v[220:221], s[10:11], v[32:33]
	v_add_f64 v[22:23], v[34:35], v[22:23]
	v_mul_f64 v[34:35], v[68:69], s[22:23]
	v_add_f64 v[36:37], v[140:141], v[36:37]
	v_fma_f64 v[16:17], v[251:252], s[34:35], v[16:17]
	v_fma_f64 v[46:47], v[230:231], s[26:27], v[40:41]
	v_add_f64 v[18:19], v[30:31], v[18:19]
	v_fma_f64 v[44:45], v[253:254], s[20:21], -v[26:27]
	v_mul_f64 v[30:31], v[234:235], s[18:19]
	v_add_f64 v[22:23], v[42:43], v[22:23]
	v_mul_f64 v[42:43], v[80:81], s[56:57]
	v_fma_f64 v[240:241], v[245:246], s[10:11], -v[34:35]
	buffer_store_dword v48, off, s[60:63], 0 offset:460 ; 4-byte Folded Spill
	s_nop 0
	buffer_store_dword v49, off, s[60:63], 0 offset:464 ; 4-byte Folded Spill
	buffer_store_dword v50, off, s[60:63], 0 offset:468 ; 4-byte Folded Spill
	;; [unrolled: 1-line block ×3, first 2 shown]
	v_fma_f64 v[20:21], v[216:217], s[20:21], -v[20:21]
	v_add_f64 v[18:19], v[28:29], v[18:19]
	v_add_f64 v[36:37], v[44:45], v[36:37]
	v_fma_f64 v[28:29], v[247:248], s[34:35], -v[38:39]
	v_mul_f64 v[38:39], v[72:73], s[48:49]
	v_fma_f64 v[44:45], v[70:71], s[2:3], v[30:31]
	v_add_f64 v[22:23], v[46:47], v[22:23]
	v_mul_f64 v[46:47], v[8:9], s[18:19]
	v_fma_f64 v[242:243], v[218:219], s[26:27], -v[42:43]
	v_fma_f64 v[26:27], v[253:254], s[20:21], v[26:27]
	v_add_f64 v[36:37], v[240:241], v[36:37]
	v_add_f64 v[28:29], v[142:143], v[28:29]
	v_fma_f64 v[48:49], v[0:1], s[30:31], v[38:39]
	v_add_f64 v[16:17], v[140:141], v[16:17]
	v_add_f64 v[22:23], v[44:45], v[22:23]
	v_mul_f64 v[44:45], v[14:15], s[48:49]
	v_fma_f64 v[50:51], v[222:223], s[2:3], -v[46:47]
	v_fma_f64 v[32:33], v[220:221], s[10:11], -v[32:33]
	v_add_f64 v[36:37], v[242:243], v[36:37]
	v_add_f64 v[20:21], v[20:21], v[28:29]
	v_mul_f64 v[28:29], v[2:3], s[54:55]
	v_fma_f64 v[34:35], v[245:246], s[10:11], v[34:35]
	v_add_f64 v[22:23], v[48:49], v[22:23]
	v_fma_f64 v[48:49], v[232:233], s[30:31], -v[44:45]
	v_add_f64 v[16:17], v[26:27], v[16:17]
	v_mul_f64 v[240:241], v[10:11], s[40:41]
	v_add_f64 v[36:37], v[50:51], v[36:37]
	v_mul_f64 v[50:51], v[236:237], s[54:55]
	v_fma_f64 v[26:27], v[82:83], s[8:9], v[28:29]
	v_add_f64 v[20:21], v[32:33], v[20:21]
	v_mul_f64 v[32:33], v[12:13], s[40:41]
	v_fma_f64 v[40:41], v[230:231], s[26:27], -v[40:41]
	v_fma_f64 v[42:43], v[218:219], s[26:27], v[42:43]
	v_add_f64 v[16:17], v[34:35], v[16:17]
	v_add_f64 v[36:37], v[48:49], v[36:37]
	v_fma_f64 v[48:49], v[74:75], s[8:9], -v[50:51]
	v_fma_f64 v[24:25], v[4:5], s[10:11], v[24:25]
	v_fma_f64 v[34:35], v[6:7], s[36:37], v[240:241]
	v_add_f64 v[22:23], v[26:27], v[22:23]
	v_fma_f64 v[26:27], v[70:71], s[2:3], -v[30:31]
	v_fma_f64 v[30:31], v[4:5], s[36:37], -v[32:33]
	v_add_f64 v[20:21], v[40:41], v[20:21]
	v_fma_f64 v[40:41], v[222:223], s[2:3], v[46:47]
	v_add_f64 v[36:37], v[48:49], v[36:37]
	v_add_f64 v[16:17], v[42:43], v[16:17]
	;; [unrolled: 1-line block ×3, first 2 shown]
	v_fma_f64 v[18:19], v[0:1], s[30:31], -v[38:39]
	v_add_f64 v[38:39], v[34:35], v[22:23]
	v_fma_f64 v[22:23], v[232:233], s[30:31], v[44:45]
	v_add_f64 v[20:21], v[26:27], v[20:21]
	buffer_store_dword v52, off, s[60:63], 0 offset:572 ; 4-byte Folded Spill
	s_nop 0
	buffer_store_dword v53, off, s[60:63], 0 offset:576 ; 4-byte Folded Spill
	buffer_store_dword v54, off, s[60:63], 0 offset:580 ; 4-byte Folded Spill
	;; [unrolled: 1-line block ×3, first 2 shown]
	v_add_f64 v[36:37], v[30:31], v[36:37]
	v_add_f64 v[16:17], v[40:41], v[16:17]
	buffer_store_dword v36, off, s[60:63], 0 offset:588 ; 4-byte Folded Spill
	s_nop 0
	buffer_store_dword v37, off, s[60:63], 0 offset:592 ; 4-byte Folded Spill
	buffer_store_dword v38, off, s[60:63], 0 offset:596 ; 4-byte Folded Spill
	;; [unrolled: 1-line block ×3, first 2 shown]
	v_fma_f64 v[26:27], v[82:83], s[8:9], -v[28:29]
	v_add_f64 v[18:19], v[18:19], v[20:21]
	v_fma_f64 v[36:37], v[74:75], s[8:9], v[50:51]
	v_add_f64 v[16:17], v[22:23], v[16:17]
	v_mul_f64 v[24:25], v[249:250], s[24:25]
	v_fma_f64 v[20:21], v[6:7], s[36:37], -v[240:241]
	v_fma_f64 v[32:33], v[4:5], s[36:37], v[32:33]
	v_mul_f64 v[28:29], v[212:213], s[44:45]
	v_mul_f64 v[34:35], v[226:227], s[24:25]
	v_add_f64 v[18:19], v[26:27], v[18:19]
	v_mul_f64 v[22:23], v[214:215], s[18:19]
	v_add_f64 v[16:17], v[36:37], v[16:17]
	v_fma_f64 v[30:31], v[247:248], s[26:27], v[24:25]
	v_mul_f64 v[26:27], v[228:229], s[44:45]
	v_mul_f64 v[36:37], v[224:225], s[46:47]
	v_fma_f64 v[38:39], v[216:217], s[36:37], v[28:29]
	v_fma_f64 v[40:41], v[251:252], s[26:27], -v[34:35]
	v_add_f64 v[18:19], v[20:21], v[18:19]
	v_fma_f64 v[42:43], v[220:221], s[2:3], v[22:23]
	v_add_f64 v[16:17], v[32:33], v[16:17]
	v_add_f64 v[30:31], v[142:143], v[30:31]
	buffer_store_dword v16, off, s[60:63], 0 offset:604 ; 4-byte Folded Spill
	s_nop 0
	buffer_store_dword v17, off, s[60:63], 0 offset:608 ; 4-byte Folded Spill
	buffer_store_dword v18, off, s[60:63], 0 offset:612 ; 4-byte Folded Spill
	;; [unrolled: 1-line block ×3, first 2 shown]
	v_add_f64 v[30:31], v[38:39], v[30:31]
	v_mul_f64 v[38:39], v[68:69], s[18:19]
	v_fma_f64 v[44:45], v[253:254], s[36:37], -v[26:27]
	v_add_f64 v[40:41], v[140:141], v[40:41]
	v_fma_f64 v[16:17], v[247:248], s[26:27], -v[24:25]
	v_mul_f64 v[18:19], v[234:235], s[58:59]
	v_fma_f64 v[20:21], v[230:231], s[34:35], v[36:37]
	v_fma_f64 v[28:29], v[216:217], s[36:37], -v[28:29]
	v_add_f64 v[24:25], v[42:43], v[30:31]
	v_fma_f64 v[30:31], v[245:246], s[2:3], -v[38:39]
	v_mul_f64 v[42:43], v[72:73], s[16:17]
	v_add_f64 v[32:33], v[44:45], v[40:41]
	v_mul_f64 v[40:41], v[80:81], s[46:47]
	v_add_f64 v[16:17], v[142:143], v[16:17]
	v_fma_f64 v[44:45], v[70:71], s[10:11], v[18:19]
	v_fma_f64 v[22:23], v[220:221], s[2:3], -v[22:23]
	v_add_f64 v[20:21], v[20:21], v[24:25]
	v_mul_f64 v[24:25], v[8:9], s[58:59]
	v_fma_f64 v[36:37], v[230:231], s[34:35], -v[36:37]
	v_add_f64 v[30:31], v[30:31], v[32:33]
	v_fma_f64 v[32:33], v[218:219], s[34:35], -v[40:41]
	v_add_f64 v[16:17], v[28:29], v[16:17]
	v_mul_f64 v[28:29], v[2:3], s[48:49]
	v_fma_f64 v[18:19], v[70:71], s[10:11], -v[18:19]
	v_add_f64 v[20:21], v[44:45], v[20:21]
	v_fma_f64 v[44:45], v[0:1], s[8:9], v[42:43]
	v_fma_f64 v[42:43], v[0:1], s[8:9], -v[42:43]
	v_fma_f64 v[34:35], v[251:252], s[26:27], v[34:35]
	v_add_f64 v[30:31], v[32:33], v[30:31]
	v_fma_f64 v[32:33], v[222:223], s[10:11], -v[24:25]
	v_add_f64 v[16:17], v[22:23], v[16:17]
	v_mul_f64 v[22:23], v[14:15], s[16:17]
	v_fma_f64 v[26:27], v[253:254], s[36:37], v[26:27]
	v_add_f64 v[20:21], v[44:45], v[20:21]
	v_fma_f64 v[44:45], v[82:83], s[30:31], v[28:29]
	v_add_f64 v[34:35], v[140:141], v[34:35]
	v_fma_f64 v[28:29], v[82:83], s[30:31], -v[28:29]
	v_add_f64 v[30:31], v[32:33], v[30:31]
	v_add_f64 v[16:17], v[36:37], v[16:17]
	v_fma_f64 v[32:33], v[232:233], s[8:9], -v[22:23]
	v_mul_f64 v[36:37], v[236:237], s[48:49]
	v_fma_f64 v[24:25], v[222:223], s[10:11], v[24:25]
	v_add_f64 v[20:21], v[44:45], v[20:21]
	v_mul_f64 v[44:45], v[10:11], s[50:51]
	v_add_f64 v[26:27], v[26:27], v[34:35]
	v_mul_f64 v[34:35], v[249:250], s[40:41]
	v_add_f64 v[16:17], v[18:19], v[16:17]
	v_add_f64 v[30:31], v[32:33], v[30:31]
	v_fma_f64 v[32:33], v[74:75], s[30:31], -v[36:37]
	v_mul_f64 v[18:19], v[12:13], s[50:51]
	v_fma_f64 v[22:23], v[232:233], s[8:9], v[22:23]
	v_fma_f64 v[36:37], v[74:75], s[30:31], v[36:37]
	v_add_f64 v[16:17], v[42:43], v[16:17]
	v_add_f64 v[30:31], v[32:33], v[30:31]
	v_fma_f64 v[32:33], v[6:7], s[20:21], v[44:45]
	v_fma_f64 v[42:43], v[4:5], s[20:21], -v[18:19]
	v_fma_f64 v[18:19], v[4:5], s[20:21], v[18:19]
	v_add_f64 v[16:17], v[28:29], v[16:17]
	v_fma_f64 v[28:29], v[218:219], s[34:35], v[40:41]
	v_fma_f64 v[40:41], v[6:7], s[20:21], -v[44:45]
	v_add_f64 v[32:33], v[32:33], v[20:21]
	v_add_f64 v[30:31], v[42:43], v[30:31]
	buffer_store_dword v30, off, s[60:63], 0 offset:620 ; 4-byte Folded Spill
	s_nop 0
	buffer_store_dword v31, off, s[60:63], 0 offset:624 ; 4-byte Folded Spill
	buffer_store_dword v32, off, s[60:63], 0 offset:628 ; 4-byte Folded Spill
	buffer_store_dword v33, off, s[60:63], 0 offset:632 ; 4-byte Folded Spill
	v_fma_f64 v[20:21], v[245:246], s[2:3], v[38:39]
	v_mul_f64 v[30:31], v[212:213], s[42:43]
	v_fma_f64 v[32:33], v[247:248], s[36:37], v[34:35]
	v_add_f64 v[42:43], v[40:41], v[16:17]
	v_fma_f64 v[34:35], v[247:248], s[36:37], -v[34:35]
	v_add_f64 v[20:21], v[20:21], v[26:27]
	v_mul_f64 v[26:27], v[214:215], s[54:55]
	v_fma_f64 v[38:39], v[216:217], s[34:35], v[30:31]
	v_add_f64 v[32:33], v[142:143], v[32:33]
	v_fma_f64 v[30:31], v[216:217], s[34:35], -v[30:31]
	v_add_f64 v[34:35], v[142:143], v[34:35]
	v_add_f64 v[20:21], v[28:29], v[20:21]
	v_fma_f64 v[28:29], v[220:221], s[8:9], v[26:27]
	v_fma_f64 v[26:27], v[220:221], s[8:9], -v[26:27]
	v_add_f64 v[32:33], v[38:39], v[32:33]
	v_mul_f64 v[38:39], v[224:225], s[28:29]
	v_add_f64 v[30:31], v[30:31], v[34:35]
	v_add_f64 v[20:21], v[24:25], v[20:21]
	v_mul_f64 v[24:25], v[234:235], s[48:49]
	v_add_f64 v[28:29], v[28:29], v[32:33]
	v_fma_f64 v[32:33], v[230:231], s[20:21], v[38:39]
	v_add_f64 v[26:27], v[26:27], v[30:31]
	v_add_f64 v[20:21], v[22:23], v[20:21]
	v_fma_f64 v[22:23], v[70:71], s[30:31], v[24:25]
	v_fma_f64 v[24:25], v[70:71], s[30:31], -v[24:25]
	v_add_f64 v[28:29], v[32:33], v[28:29]
	v_mul_f64 v[32:33], v[72:73], s[58:59]
	v_add_f64 v[20:21], v[36:37], v[20:21]
	v_mul_f64 v[36:37], v[2:3], s[18:19]
	v_add_f64 v[22:23], v[22:23], v[28:29]
	v_fma_f64 v[28:29], v[0:1], s[10:11], v[32:33]
	v_fma_f64 v[32:33], v[0:1], s[10:11], -v[32:33]
	v_add_f64 v[40:41], v[18:19], v[20:21]
	v_fma_f64 v[16:17], v[82:83], s[2:3], v[36:37]
	v_mul_f64 v[20:21], v[226:227], s[40:41]
	buffer_store_dword v40, off, s[60:63], 0 offset:636 ; 4-byte Folded Spill
	s_nop 0
	buffer_store_dword v41, off, s[60:63], 0 offset:640 ; 4-byte Folded Spill
	buffer_store_dword v42, off, s[60:63], 0 offset:644 ; 4-byte Folded Spill
	buffer_store_dword v43, off, s[60:63], 0 offset:648 ; 4-byte Folded Spill
	v_add_f64 v[18:19], v[28:29], v[22:23]
	v_mul_f64 v[22:23], v[228:229], s[42:43]
	v_fma_f64 v[36:37], v[82:83], s[2:3], -v[36:37]
	v_add_f64 v[16:17], v[16:17], v[18:19]
	v_fma_f64 v[18:19], v[251:252], s[36:37], -v[20:21]
	v_fma_f64 v[28:29], v[253:254], s[34:35], -v[22:23]
	v_fma_f64 v[20:21], v[251:252], s[36:37], v[20:21]
	v_fma_f64 v[22:23], v[253:254], s[34:35], v[22:23]
	v_add_f64 v[18:19], v[140:141], v[18:19]
	v_add_f64 v[20:21], v[140:141], v[20:21]
	;; [unrolled: 1-line block ×3, first 2 shown]
	v_mul_f64 v[28:29], v[68:69], s[54:55]
	v_add_f64 v[20:21], v[22:23], v[20:21]
	v_fma_f64 v[40:41], v[245:246], s[8:9], -v[28:29]
	v_fma_f64 v[22:23], v[245:246], s[8:9], v[28:29]
	v_fma_f64 v[28:29], v[230:231], s[20:21], -v[38:39]
	v_add_f64 v[18:19], v[40:41], v[18:19]
	v_mul_f64 v[40:41], v[80:81], s[28:29]
	v_add_f64 v[20:21], v[22:23], v[20:21]
	v_mul_f64 v[22:23], v[14:15], s[58:59]
	v_add_f64 v[26:27], v[28:29], v[26:27]
	v_fma_f64 v[42:43], v[218:219], s[20:21], -v[40:41]
	v_fma_f64 v[30:31], v[218:219], s[20:21], v[40:41]
	v_fma_f64 v[28:29], v[232:233], s[10:11], -v[22:23]
	v_add_f64 v[24:25], v[24:25], v[26:27]
	v_fma_f64 v[22:23], v[232:233], s[10:11], v[22:23]
	v_add_f64 v[18:19], v[42:43], v[18:19]
	v_mul_f64 v[42:43], v[8:9], s[48:49]
	v_add_f64 v[20:21], v[30:31], v[20:21]
	v_mul_f64 v[30:31], v[236:237], s[18:19]
	v_add_f64 v[24:25], v[32:33], v[24:25]
	v_fma_f64 v[44:45], v[222:223], s[30:31], -v[42:43]
	v_fma_f64 v[34:35], v[222:223], s[30:31], v[42:43]
	v_fma_f64 v[26:27], v[74:75], s[2:3], -v[30:31]
	v_add_f64 v[24:25], v[36:37], v[24:25]
	v_add_f64 v[18:19], v[44:45], v[18:19]
	;; [unrolled: 1-line block ×3, first 2 shown]
	v_mul_f64 v[34:35], v[12:13], s[24:25]
	v_add_f64 v[18:19], v[28:29], v[18:19]
	v_mul_f64 v[28:29], v[10:11], s[24:25]
	v_fma_f64 v[32:33], v[4:5], s[26:27], -v[34:35]
	v_add_f64 v[20:21], v[22:23], v[20:21]
	v_mul_f64 v[22:23], v[249:250], s[22:23]
	v_add_f64 v[18:19], v[26:27], v[18:19]
	v_fma_f64 v[26:27], v[6:7], s[26:27], v[28:29]
	v_fma_f64 v[28:29], v[6:7], s[26:27], -v[28:29]
	v_add_f64 v[38:39], v[32:33], v[18:19]
	v_add_f64 v[40:41], v[26:27], v[16:17]
	v_fma_f64 v[16:17], v[74:75], s[2:3], v[30:31]
	v_mul_f64 v[18:19], v[212:213], s[48:49]
	v_fma_f64 v[26:27], v[247:248], s[10:11], v[22:23]
	v_fma_f64 v[30:31], v[4:5], s[26:27], v[34:35]
	v_add_f64 v[242:243], v[28:29], v[24:25]
	v_mul_f64 v[34:35], v[72:73], s[46:47]
	v_fma_f64 v[22:23], v[247:248], s[10:11], -v[22:23]
	buffer_store_dword v38, off, s[60:63], 0 offset:652 ; 4-byte Folded Spill
	s_nop 0
	buffer_store_dword v39, off, s[60:63], 0 offset:656 ; 4-byte Folded Spill
	buffer_store_dword v40, off, s[60:63], 0 offset:660 ; 4-byte Folded Spill
	;; [unrolled: 1-line block ×3, first 2 shown]
	v_add_f64 v[16:17], v[16:17], v[20:21]
	v_mul_f64 v[20:21], v[214:215], s[44:45]
	v_fma_f64 v[32:33], v[216:217], s[30:31], v[18:19]
	v_add_f64 v[26:27], v[142:143], v[26:27]
	v_mul_f64 v[40:41], v[228:229], s[48:49]
	v_fma_f64 v[18:19], v[216:217], s[30:31], -v[18:19]
	v_add_f64 v[22:23], v[142:143], v[22:23]
	v_add_f64 v[28:29], v[142:143], v[198:199]
	;; [unrolled: 1-line block ×3, first 2 shown]
	v_fma_f64 v[16:17], v[220:221], s[36:37], v[20:21]
	v_fma_f64 v[20:21], v[220:221], s[36:37], -v[20:21]
	v_add_f64 v[24:25], v[32:33], v[26:27]
	v_mul_f64 v[26:27], v[224:225], s[52:53]
	v_mul_f64 v[32:33], v[234:235], s[28:29]
	v_fma_f64 v[42:43], v[253:254], s[30:31], -v[40:41]
	v_add_f64 v[18:19], v[18:19], v[22:23]
	v_fma_f64 v[22:23], v[253:254], s[30:31], v[40:41]
	v_add_f64 v[30:31], v[140:141], v[196:197]
	v_add_f64 v[28:29], v[202:203], v[28:29]
	;; [unrolled: 1-line block ×3, first 2 shown]
	v_fma_f64 v[24:25], v[230:231], s[2:3], v[26:27]
	v_fma_f64 v[36:37], v[70:71], s[20:21], v[32:33]
	buffer_load_dword v52, off, s[60:63], 0 offset:564 ; 4-byte Folded Reload
	buffer_load_dword v53, off, s[60:63], 0 offset:568 ; 4-byte Folded Reload
	v_add_f64 v[18:19], v[20:21], v[18:19]
	v_fma_f64 v[20:21], v[230:231], s[2:3], -v[26:27]
	v_add_f64 v[30:31], v[200:201], v[30:31]
	v_add_f64 v[28:29], v[194:195], v[28:29]
	v_mul_f64 v[194:195], v[218:219], s[10:11]
	v_add_f64 v[16:17], v[24:25], v[16:17]
	v_fma_f64 v[24:25], v[0:1], s[34:35], v[34:35]
	v_add_f64 v[18:19], v[20:21], v[18:19]
	v_add_f64 v[30:31], v[192:193], v[30:31]
	;; [unrolled: 1-line block ×3, first 2 shown]
	v_mul_f64 v[192:193], v[214:215], s[24:25]
	v_add_f64 v[16:17], v[36:37], v[16:17]
	v_mul_f64 v[36:37], v[2:3], s[56:57]
	v_mul_f64 v[186:187], v[251:252], s[8:9]
	v_add_f64 v[30:31], v[184:185], v[30:31]
	v_add_f64 v[28:29], v[190:191], v[28:29]
	v_mul_f64 v[190:191], v[212:213], s[22:23]
	v_add_f64 v[16:17], v[24:25], v[16:17]
	v_fma_f64 v[24:25], v[82:83], s[26:27], v[36:37]
	v_fma_f64 v[36:37], v[82:83], s[26:27], -v[36:37]
	v_mul_f64 v[184:185], v[251:252], s[2:3]
	v_add_f64 v[30:31], v[188:189], v[30:31]
	v_add_f64 v[28:29], v[170:171], v[28:29]
	v_mul_f64 v[188:189], v[249:250], s[16:17]
	v_add_f64 v[16:17], v[24:25], v[16:17]
	v_mul_f64 v[24:25], v[226:227], s[22:23]
	v_add_f64 v[30:31], v[168:169], v[30:31]
	v_fma_f64 v[38:39], v[251:252], s[10:11], -v[24:25]
	v_fma_f64 v[20:21], v[251:252], s[10:11], v[24:25]
	v_fma_f64 v[24:25], v[70:71], s[20:21], -v[32:33]
	v_fma_f64 v[32:33], v[0:1], s[34:35], -v[34:35]
	v_mul_f64 v[34:35], v[10:11], s[54:55]
	v_add_f64 v[38:39], v[140:141], v[38:39]
	v_add_f64 v[20:21], v[140:141], v[20:21]
	;; [unrolled: 1-line block ×4, first 2 shown]
	v_mul_f64 v[42:43], v[68:69], s[44:45]
	v_add_f64 v[20:21], v[22:23], v[20:21]
	v_add_f64 v[18:19], v[32:33], v[18:19]
	v_fma_f64 v[44:45], v[245:246], s[36:37], -v[42:43]
	v_fma_f64 v[22:23], v[245:246], s[36:37], v[42:43]
	v_add_f64 v[18:19], v[36:37], v[18:19]
	v_add_f64 v[38:39], v[44:45], v[38:39]
	v_mul_f64 v[44:45], v[80:81], s[52:53]
	v_add_f64 v[20:21], v[22:23], v[20:21]
	s_waitcnt vmcnt(0)
	v_add_f64 v[188:189], v[52:53], -v[188:189]
	v_fma_f64 v[46:47], v[218:219], s[2:3], -v[44:45]
	v_fma_f64 v[22:23], v[218:219], s[2:3], v[44:45]
	v_mul_f64 v[44:45], v[224:225], s[44:45]
	v_add_f64 v[188:189], v[142:143], v[188:189]
	v_add_f64 v[38:39], v[46:47], v[38:39]
	v_mul_f64 v[46:47], v[8:9], s[28:29]
	v_add_f64 v[20:21], v[22:23], v[20:21]
	v_mul_f64 v[22:23], v[14:15], s[46:47]
	v_mul_f64 v[8:9], v[8:9], s[54:55]
	;; [unrolled: 1-line block ×3, first 2 shown]
	v_fma_f64 v[48:49], v[222:223], s[20:21], -v[46:47]
	v_fma_f64 v[26:27], v[222:223], s[20:21], v[46:47]
	v_fma_f64 v[24:25], v[232:233], s[34:35], -v[22:23]
	v_fma_f64 v[22:23], v[232:233], s[34:35], v[22:23]
	v_add_f64 v[38:39], v[48:49], v[38:39]
	v_add_f64 v[20:21], v[26:27], v[20:21]
	v_mul_f64 v[26:27], v[236:237], s[56:57]
	v_fma_f64 v[48:49], v[230:231], s[36:37], v[44:45]
	v_fma_f64 v[44:45], v[230:231], s[36:37], -v[44:45]
	v_add_f64 v[24:25], v[24:25], v[38:39]
	v_add_f64 v[20:21], v[22:23], v[20:21]
	v_fma_f64 v[32:33], v[74:75], s[26:27], -v[26:27]
	v_mul_f64 v[22:23], v[12:13], s[54:55]
	v_fma_f64 v[26:27], v[74:75], s[26:27], v[26:27]
	v_mul_f64 v[12:13], v[12:13], s[46:47]
	v_add_f64 v[24:25], v[32:33], v[24:25]
	v_fma_f64 v[32:33], v[6:7], s[8:9], v[34:35]
	v_fma_f64 v[36:37], v[4:5], s[8:9], -v[22:23]
	v_fma_f64 v[34:35], v[6:7], s[8:9], -v[34:35]
	v_add_f64 v[20:21], v[26:27], v[20:21]
	v_mul_f64 v[26:27], v[224:225], s[48:49]
	v_add_f64 v[198:199], v[32:33], v[16:17]
	v_fma_f64 v[16:17], v[4:5], s[8:9], v[22:23]
	v_mul_f64 v[22:23], v[249:250], s[28:29]
	v_add_f64 v[202:203], v[34:35], v[18:19]
	v_mul_f64 v[18:19], v[226:227], s[28:29]
	v_add_f64 v[196:197], v[36:37], v[24:25]
	v_mul_f64 v[24:25], v[10:11], s[48:49]
	s_mov_b32 s49, 0x3fc7851a
	v_mul_f64 v[32:33], v[228:229], s[24:25]
	v_add_f64 v[200:201], v[16:17], v[20:21]
	v_mul_f64 v[16:17], v[212:213], s[24:25]
	v_fma_f64 v[20:21], v[247:248], s[20:21], v[22:23]
	v_fma_f64 v[22:23], v[247:248], s[20:21], -v[22:23]
	v_fma_f64 v[34:35], v[251:252], s[20:21], -v[18:19]
	v_mul_f64 v[36:37], v[214:215], s[48:49]
	v_fma_f64 v[18:19], v[251:252], s[20:21], v[18:19]
	v_mul_f64 v[40:41], v[68:69], s[48:49]
	v_fma_f64 v[42:43], v[253:254], s[26:27], -v[32:33]
	v_fma_f64 v[38:39], v[216:217], s[26:27], v[16:17]
	v_add_f64 v[20:21], v[142:143], v[20:21]
	v_fma_f64 v[16:17], v[216:217], s[26:27], -v[16:17]
	v_add_f64 v[22:23], v[142:143], v[22:23]
	v_add_f64 v[34:35], v[140:141], v[34:35]
	v_fma_f64 v[46:47], v[220:221], s[30:31], v[36:37]
	v_fma_f64 v[36:37], v[220:221], s[30:31], -v[36:37]
	v_fma_f64 v[32:33], v[253:254], s[26:27], v[32:33]
	v_add_f64 v[18:19], v[140:141], v[18:19]
	v_add_f64 v[20:21], v[38:39], v[20:21]
	v_fma_f64 v[38:39], v[245:246], s[30:31], -v[40:41]
	v_add_f64 v[16:17], v[16:17], v[22:23]
	v_add_f64 v[34:35], v[42:43], v[34:35]
	v_mul_f64 v[42:43], v[80:81], s[44:45]
	v_fma_f64 v[40:41], v[245:246], s[30:31], v[40:41]
	v_mul_f64 v[216:217], v[234:235], s[40:41]
	v_add_f64 v[18:19], v[32:33], v[18:19]
	v_add_f64 v[20:21], v[46:47], v[20:21]
	v_mul_f64 v[46:47], v[234:235], s[54:55]
	v_add_f64 v[16:17], v[36:37], v[16:17]
	v_add_f64 v[34:35], v[38:39], v[34:35]
	v_fma_f64 v[38:39], v[218:219], s[36:37], -v[42:43]
	v_fma_f64 v[42:43], v[218:219], s[36:37], v[42:43]
	v_mul_f64 v[220:221], v[234:235], s[42:43]
	v_add_f64 v[18:19], v[40:41], v[18:19]
	v_add_f64 v[20:21], v[48:49], v[20:21]
	v_mul_f64 v[48:49], v[72:73], s[18:19]
	v_fma_f64 v[50:51], v[70:71], s[8:9], v[46:47]
	v_fma_f64 v[46:47], v[70:71], s[8:9], -v[46:47]
	v_add_f64 v[16:17], v[44:45], v[16:17]
	v_add_f64 v[34:35], v[38:39], v[34:35]
	v_fma_f64 v[38:39], v[222:223], s[8:9], -v[8:9]
	v_fma_f64 v[8:9], v[222:223], s[8:9], v[8:9]
	v_add_f64 v[18:19], v[42:43], v[18:19]
	v_mul_f64 v[68:69], v[2:3], s[22:23]
	v_add_f64 v[20:21], v[50:51], v[20:21]
	v_fma_f64 v[50:51], v[0:1], s[2:3], v[48:49]
	v_fma_f64 v[0:1], v[0:1], s[2:3], -v[48:49]
	v_add_f64 v[16:17], v[46:47], v[16:17]
	v_mul_f64 v[46:47], v[218:219], s[30:31]
	buffer_load_dword v218, off, s[60:63], 0 offset:252 ; 4-byte Folded Reload
	buffer_load_dword v219, off, s[60:63], 0 offset:256 ; 4-byte Folded Reload
	;; [unrolled: 1-line block ×8, first 2 shown]
	v_add_f64 v[8:9], v[8:9], v[18:19]
	v_mul_f64 v[32:33], v[2:3], s[46:47]
	v_add_f64 v[0:1], v[0:1], v[16:17]
	buffer_load_dword v16, off, s[60:63], 0 offset:364 ; 4-byte Folded Reload
	buffer_load_dword v17, off, s[60:63], 0 offset:368 ; 4-byte Folded Reload
	;; [unrolled: 1-line block ×4, first 2 shown]
	v_mul_f64 v[2:3], v[2:3], s[50:51]
	v_add_f64 v[20:21], v[50:51], v[20:21]
	v_fma_f64 v[50:51], v[82:83], s[10:11], v[68:69]
	v_fma_f64 v[68:69], v[82:83], s[10:11], -v[68:69]
	v_fma_f64 v[82:83], v[4:5], s[34:35], -v[12:13]
	v_add_f64 v[34:35], v[38:39], v[34:35]
	v_fma_f64 v[38:39], v[232:233], s[2:3], -v[14:15]
	v_mul_f64 v[22:23], v[249:250], s[18:19]
	v_fma_f64 v[14:15], v[232:233], s[2:3], v[14:15]
	v_mul_f64 v[80:81], v[236:237], s[22:23]
	v_mul_f64 v[36:37], v[253:254], s[8:9]
	v_add_f64 v[20:21], v[50:51], v[20:21]
	v_mul_f64 v[50:51], v[212:213], s[16:17]
	v_mul_f64 v[48:49], v[245:246], s[26:27]
	v_add_f64 v[34:35], v[38:39], v[34:35]
	v_mul_f64 v[44:45], v[214:215], s[28:29]
	v_add_f64 v[8:9], v[14:15], v[8:9]
	v_fma_f64 v[38:39], v[74:75], s[10:11], -v[80:81]
	v_mul_f64 v[70:71], v[245:246], s[20:21]
	v_mul_f64 v[212:213], v[224:225], s[22:23]
	;; [unrolled: 1-line block ×6, first 2 shown]
	v_add_f64 v[0:1], v[68:69], v[0:1]
	v_add_f64 v[34:35], v[38:39], v[34:35]
	v_mul_f64 v[38:39], v[253:254], s[10:11]
	v_add_f64 v[68:69], v[82:83], v[34:35]
	s_waitcnt vmcnt(10)
	v_add_f64 v[190:191], v[218:219], -v[190:191]
	s_waitcnt vmcnt(8)
	v_add_f64 v[192:193], v[226:227], -v[192:193]
	;; [unrolled: 2-line block ×3, first 2 shown]
	v_mul_f64 v[226:227], v[72:73], s[24:25]
	v_mul_f64 v[72:73], v[72:73], s[44:45]
	s_waitcnt vmcnt(4)
	v_add_f64 v[220:221], v[234:235], -v[220:221]
	v_mul_f64 v[218:219], v[222:223], s[34:35]
	v_mul_f64 v[230:231], v[74:75], s[20:21]
	s_waitcnt vmcnt(0)
	v_add_f64 v[2:3], v[18:19], -v[2:3]
	v_add_f64 v[18:19], v[178:179], v[28:29]
	v_fma_f64 v[28:29], v[4:5], s[34:35], v[12:13]
	buffer_load_dword v12, off, s[60:63], 0 offset:404 ; 4-byte Folded Reload
	buffer_load_dword v13, off, s[60:63], 0 offset:408 ; 4-byte Folded Reload
	v_add_f64 v[188:189], v[190:191], v[188:189]
	v_add_f64 v[16:17], v[16:17], -v[72:73]
	v_mul_f64 v[190:191], v[232:233], s[36:37]
	v_mul_f64 v[234:235], v[4:5], s[2:3]
	v_fma_f64 v[4:5], v[74:75], s[10:11], v[80:81]
	v_add_f64 v[188:189], v[192:193], v[188:189]
	v_mul_f64 v[192:193], v[10:11], s[46:47]
	v_mul_f64 v[10:11], v[10:11], s[52:53]
	v_add_f64 v[26:27], v[26:27], v[188:189]
	v_fma_f64 v[188:189], v[6:7], s[34:35], v[192:193]
	v_fma_f64 v[6:7], v[6:7], s[34:35], -v[192:193]
	v_add_f64 v[26:27], v[220:221], v[26:27]
	v_add_f64 v[16:17], v[16:17], v[26:27]
	;; [unrolled: 1-line block ×14, first 2 shown]
	s_waitcnt vmcnt(0)
	v_add_f64 v[10:11], v[12:13], -v[10:11]
	buffer_load_dword v12, off, s[60:63], 0 offset:532 ; 4-byte Folded Reload
	buffer_load_dword v13, off, s[60:63], 0 offset:536 ; 4-byte Folded Reload
	;; [unrolled: 1-line block ×4, first 2 shown]
	v_add_f64 v[2:3], v[166:167], v[2:3]
	v_add_f64 v[16:17], v[164:165], v[16:17]
	;; [unrolled: 1-line block ×5, first 2 shown]
	s_waitcnt vmcnt(2)
	v_add_f64 v[12:13], v[12:13], -v[22:23]
	buffer_load_dword v22, off, s[60:63], 0 offset:508 ; 4-byte Folded Reload
	buffer_load_dword v23, off, s[60:63], 0 offset:512 ; 4-byte Folded Reload
	;; [unrolled: 1-line block ×6, first 2 shown]
	s_waitcnt vmcnt(6)
	v_add_f64 v[18:19], v[184:185], v[18:19]
	v_add_f64 v[12:13], v[142:143], v[12:13]
	;; [unrolled: 1-line block ×3, first 2 shown]
	s_waitcnt vmcnt(4)
	v_add_f64 v[22:23], v[186:187], v[22:23]
	s_waitcnt vmcnt(2)
	v_add_f64 v[26:27], v[38:39], v[26:27]
	buffer_load_dword v38, off, s[60:63], 0 offset:484 ; 4-byte Folded Reload
	buffer_load_dword v39, off, s[60:63], 0 offset:488 ; 4-byte Folded Reload
	s_waitcnt vmcnt(2)
	v_add_f64 v[30:31], v[30:31], -v[50:51]
	v_add_f64 v[22:23], v[140:141], v[22:23]
	v_add_f64 v[12:13], v[30:31], v[12:13]
	v_add_f64 v[22:23], v[26:27], v[22:23]
	s_waitcnt vmcnt(0)
	v_add_f64 v[36:37], v[36:37], v[38:39]
	buffer_load_dword v38, off, s[60:63], 0 offset:556 ; 4-byte Folded Reload
	buffer_load_dword v39, off, s[60:63], 0 offset:560 ; 4-byte Folded Reload
	v_add_f64 v[18:19], v[36:37], v[18:19]
	s_waitcnt vmcnt(0)
	v_add_f64 v[38:39], v[48:49], v[38:39]
	buffer_load_dword v48, off, s[60:63], 0 offset:460 ; 4-byte Folded Reload
	buffer_load_dword v49, off, s[60:63], 0 offset:464 ; 4-byte Folded Reload
	;; [unrolled: 1-line block ×12, first 2 shown]
	v_add_f64 v[22:23], v[38:39], v[22:23]
	s_waitcnt vmcnt(6)
	v_add_f64 v[42:43], v[42:43], -v[44:45]
	s_waitcnt vmcnt(4)
	v_add_f64 v[30:31], v[70:71], v[30:31]
	s_waitcnt vmcnt(2)
	v_add_f64 v[26:27], v[46:47], v[26:27]
	s_waitcnt vmcnt(0)
	v_add_f64 v[36:37], v[36:37], -v[212:213]
	v_add_f64 v[70:71], v[188:189], v[20:21]
	v_add_f64 v[12:13], v[42:43], v[12:13]
	buffer_load_dword v42, off, s[60:63], 0 offset:236 ; 4-byte Folded Reload
	buffer_load_dword v43, off, s[60:63], 0 offset:240 ; 4-byte Folded Reload
	v_add_f64 v[18:19], v[30:31], v[18:19]
	buffer_load_dword v30, off, s[60:63], 0 offset:292 ; 4-byte Folded Reload
	buffer_load_dword v31, off, s[60:63], 0 offset:296 ; 4-byte Folded Reload
	;; [unrolled: 1-line block ×4, first 2 shown]
	v_add_f64 v[22:23], v[26:27], v[22:23]
	v_add_f64 v[12:13], v[36:37], v[12:13]
	buffer_load_dword v36, off, s[60:63], 0 offset:276 ; 4-byte Folded Reload
	buffer_load_dword v37, off, s[60:63], 0 offset:280 ; 4-byte Folded Reload
	buffer_load_dword v26, off, s[60:63], 0 offset:324 ; 4-byte Folded Reload
	buffer_load_dword v27, off, s[60:63], 0 offset:328 ; 4-byte Folded Reload
	s_waitcnt vmcnt(8)
	v_add_f64 v[42:43], v[194:195], v[42:43]
	s_waitcnt vmcnt(6)
	v_add_f64 v[30:31], v[218:219], v[30:31]
	s_waitcnt vmcnt(4)
	v_add_f64 v[38:39], v[38:39], -v[216:217]
	s_waitcnt vmcnt(2)
	v_add_f64 v[36:37], v[214:215], v[36:37]
	v_add_f64 v[18:19], v[42:43], v[18:19]
	buffer_load_dword v42, off, s[60:63], 0 offset:316 ; 4-byte Folded Reload
	buffer_load_dword v43, off, s[60:63], 0 offset:320 ; 4-byte Folded Reload
	v_add_f64 v[12:13], v[38:39], v[12:13]
	buffer_load_dword v38, off, s[60:63], 0 offset:308 ; 4-byte Folded Reload
	buffer_load_dword v39, off, s[60:63], 0 offset:312 ; 4-byte Folded Reload
	;; [unrolled: 3-line block ×3, first 2 shown]
	s_waitcnt vmcnt(6)
	v_add_f64 v[26:27], v[190:191], v[26:27]
	v_add_f64 v[18:19], v[36:37], v[18:19]
	buffer_load_dword v36, off, s[60:63], 0 offset:348 ; 4-byte Folded Reload
	buffer_load_dword v37, off, s[60:63], 0 offset:352 ; 4-byte Folded Reload
	v_add_f64 v[22:23], v[26:27], v[22:23]
	s_waitcnt vmcnt(6)
	v_add_f64 v[42:43], v[42:43], -v[226:227]
	s_waitcnt vmcnt(4)
	v_add_f64 v[38:39], v[224:225], v[38:39]
	s_waitcnt vmcnt(2)
	v_add_f64 v[30:31], v[230:231], v[30:31]
	s_waitcnt vmcnt(0)
	v_add_f64 v[32:33], v[36:37], -v[32:33]
	v_add_f64 v[12:13], v[42:43], v[12:13]
	buffer_load_dword v36, off, s[60:63], 0 offset:340 ; 4-byte Folded Reload
	buffer_load_dword v37, off, s[60:63], 0 offset:344 ; 4-byte Folded Reload
	v_add_f64 v[18:19], v[38:39], v[18:19]
	buffer_load_dword v26, off, s[60:63], 0 offset:388 ; 4-byte Folded Reload
	buffer_load_dword v27, off, s[60:63], 0 offset:392 ; 4-byte Folded Reload
	;; [unrolled: 1-line block ×4, first 2 shown]
	v_add_f64 v[22:23], v[30:31], v[22:23]
	v_add_f64 v[30:31], v[4:5], v[8:9]
	;; [unrolled: 1-line block ×3, first 2 shown]
	buffer_load_dword v32, off, s[60:63], 0 offset:372 ; 4-byte Folded Reload
	buffer_load_dword v33, off, s[60:63], 0 offset:376 ; 4-byte Folded Reload
	s_waitcnt vmcnt(6)
	v_add_f64 v[36:37], v[228:229], v[36:37]
	s_waitcnt vmcnt(4)
	v_add_f64 v[26:27], v[234:235], v[26:27]
	s_waitcnt vmcnt(2)
	v_add_f64 v[24:25], v[38:39], -v[24:25]
	v_add_f64 v[38:39], v[182:183], v[2:3]
	v_add_f64 v[2:3], v[6:7], v[0:1]
	;; [unrolled: 1-line block ×4, first 2 shown]
	s_waitcnt vmcnt(0)
	v_add_f64 v[32:33], v[40:41], v[32:33]
	v_add_f64 v[18:19], v[36:37], v[18:19]
	buffer_load_dword v40, off, s[60:63], 0 offset:444 ; 4-byte Folded Reload
	buffer_load_dword v41, off, s[60:63], 0 offset:448 ; 4-byte Folded Reload
	;; [unrolled: 1-line block ×4, first 2 shown]
	v_add_f64 v[10:11], v[24:25], v[12:13]
	v_add_f64 v[14:15], v[138:139], v[38:39]
	buffer_load_dword v36, off, s[60:63], 0 offset:428 ; 4-byte Folded Reload
	buffer_load_dword v37, off, s[60:63], 0 offset:432 ; 4-byte Folded Reload
	;; [unrolled: 1-line block ×4, first 2 shown]
	v_add_f64 v[12:13], v[136:137], v[16:17]
	v_add_f64 v[4:5], v[26:27], v[22:23]
	v_add_f64 v[8:9], v[32:33], v[18:19]
	buffer_load_dword v32, off, s[60:63], 0 offset:412 ; 4-byte Folded Reload
	buffer_load_dword v33, off, s[60:63], 0 offset:416 ; 4-byte Folded Reload
	;; [unrolled: 1-line block ×5, first 2 shown]
	buffer_load_dword v17, off, s[60:63], 0 ; 4-byte Folded Reload
	s_waitcnt vmcnt(1)
	v_mul_lo_u16_e32 v16, 17, v16
	s_waitcnt vmcnt(0)
	v_lshl_add_u32 v16, v16, 4, v17
	ds_write_b128 v16, v[12:15]
	ds_write_b128 v16, v[8:11] offset:16
	ds_write_b128 v16, v[4:7] offset:32
	;; [unrolled: 1-line block ×5, first 2 shown]
	buffer_load_dword v0, off, s[60:63], 0 offset:636 ; 4-byte Folded Reload
	buffer_load_dword v1, off, s[60:63], 0 offset:640 ; 4-byte Folded Reload
	buffer_load_dword v2, off, s[60:63], 0 offset:644 ; 4-byte Folded Reload
	buffer_load_dword v3, off, s[60:63], 0 offset:648 ; 4-byte Folded Reload
	s_waitcnt vmcnt(0)
	ds_write_b128 v16, v[0:3] offset:96
	buffer_load_dword v0, off, s[60:63], 0 offset:604 ; 4-byte Folded Reload
	buffer_load_dword v1, off, s[60:63], 0 offset:608 ; 4-byte Folded Reload
	buffer_load_dword v2, off, s[60:63], 0 offset:612 ; 4-byte Folded Reload
	buffer_load_dword v3, off, s[60:63], 0 offset:616 ; 4-byte Folded Reload
	s_waitcnt vmcnt(0)
	ds_write_b128 v16, v[0:3] offset:112
	;; [unrolled: 6-line block ×7, first 2 shown]
	ds_write_b128 v16, v[196:199] offset:208
	ds_write_b128 v16, v[68:71] offset:224
	;; [unrolled: 1-line block ×4, first 2 shown]
.LBB0_17:
	s_or_b64 exec, exec, s[38:39]
	s_waitcnt lgkmcnt(0)
	s_barrier
	ds_read_b128 v[144:147], v255
	ds_read_b128 v[140:143], v255 offset:1360
	ds_read_b128 v[184:187], v255 offset:8704
	;; [unrolled: 1-line block ×14, first 2 shown]
	s_and_saveexec_b64 s[2:3], s[0:1]
	s_cbranch_execz .LBB0_19
; %bb.18:
	ds_read_b128 v[204:207], v255 offset:4080
	ds_read_b128 v[208:211], v255 offset:8432
	;; [unrolled: 1-line block ×3, first 2 shown]
	s_waitcnt lgkmcnt(0)
	buffer_store_dword v0, off, s[60:63], 0 offset:8 ; 4-byte Folded Spill
	s_nop 0
	buffer_store_dword v1, off, s[60:63], 0 offset:12 ; 4-byte Folded Spill
	buffer_store_dword v2, off, s[60:63], 0 offset:16 ; 4-byte Folded Spill
	buffer_store_dword v3, off, s[60:63], 0 offset:20 ; 4-byte Folded Spill
	ds_read_b128 v[0:3], v255 offset:17136
	s_waitcnt lgkmcnt(0)
	buffer_store_dword v0, off, s[60:63], 0 offset:24 ; 4-byte Folded Spill
	s_nop 0
	buffer_store_dword v1, off, s[60:63], 0 offset:28 ; 4-byte Folded Spill
	buffer_store_dword v2, off, s[60:63], 0 offset:32 ; 4-byte Folded Spill
	;; [unrolled: 1-line block ×3, first 2 shown]
	ds_read_b128 v[0:3], v255 offset:21488
	s_waitcnt lgkmcnt(0)
	buffer_store_dword v0, off, s[60:63], 0 offset:40 ; 4-byte Folded Spill
	s_nop 0
	buffer_store_dword v1, off, s[60:63], 0 offset:44 ; 4-byte Folded Spill
	buffer_store_dword v2, off, s[60:63], 0 offset:48 ; 4-byte Folded Spill
	;; [unrolled: 1-line block ×3, first 2 shown]
.LBB0_19:
	s_or_b64 exec, exec, s[2:3]
	s_waitcnt lgkmcnt(8)
	v_mul_f64 v[2:3], v[50:51], v[188:189]
	v_mul_f64 v[4:5], v[42:43], v[186:187]
	s_waitcnt lgkmcnt(4)
	v_mul_f64 v[8:9], v[38:39], v[194:195]
	v_mul_f64 v[10:11], v[38:39], v[192:193]
	;; [unrolled: 1-line block ×6, first 2 shown]
	v_fma_f64 v[18:19], v[48:49], v[190:191], -v[2:3]
	v_fma_f64 v[2:3], v[40:41], v[184:185], v[4:5]
	v_fma_f64 v[4:5], v[36:37], v[192:193], v[8:9]
	v_fma_f64 v[10:11], v[36:37], v[194:195], -v[10:11]
	buffer_load_dword v34, off, s[60:63], 0 offset:132 ; 4-byte Folded Reload
	buffer_load_dword v35, off, s[60:63], 0 offset:136 ; 4-byte Folded Reload
	;; [unrolled: 1-line block ×4, first 2 shown]
	v_fma_f64 v[8:9], v[32:33], v[180:181], v[12:13]
	v_fma_f64 v[16:17], v[48:49], v[188:189], v[0:1]
	v_fma_f64 v[6:7], v[40:41], v[186:187], -v[6:7]
	buffer_load_dword v44, off, s[60:63], 0 offset:116 ; 4-byte Folded Reload
	buffer_load_dword v45, off, s[60:63], 0 offset:120 ; 4-byte Folded Reload
	;; [unrolled: 1-line block ×8, first 2 shown]
	v_fma_f64 v[14:15], v[32:33], v[182:183], -v[14:15]
	s_mov_b32 s2, 0x134454ff
	s_mov_b32 s3, 0xbfee6f0e
	;; [unrolled: 1-line block ×6, first 2 shown]
	v_add_f64 v[74:75], v[4:5], -v[8:9]
	s_mov_b32 s17, 0x3fe2cf23
	s_mov_b32 s16, s8
	v_add_f64 v[80:81], v[16:17], -v[8:9]
	s_mov_b32 s18, 0x372fe950
	s_mov_b32 s19, 0x3fd3c6ef
	s_waitcnt vmcnt(8)
	v_mul_f64 v[0:1], v[36:37], v[174:175]
	v_mul_f64 v[12:13], v[36:37], v[172:173]
	buffer_load_dword v36, off, s[60:63], 0 offset:84 ; 4-byte Folded Reload
	buffer_load_dword v37, off, s[60:63], 0 offset:88 ; 4-byte Folded Reload
	;; [unrolled: 1-line block ×12, first 2 shown]
	s_waitcnt vmcnt(16)
	v_mul_f64 v[20:21], v[46:47], v[170:171]
	v_mul_f64 v[22:23], v[46:47], v[168:169]
	s_waitcnt vmcnt(12) lgkmcnt(2)
	v_mul_f64 v[24:25], v[42:43], v[178:179]
	v_fma_f64 v[28:29], v[34:35], v[172:173], v[0:1]
	v_fma_f64 v[34:35], v[34:35], v[174:175], -v[12:13]
	v_mul_f64 v[12:13], v[62:63], v[162:163]
	v_mul_f64 v[26:27], v[42:43], v[176:177]
	v_add_f64 v[42:43], v[2:3], v[4:5]
	v_fma_f64 v[32:33], v[44:45], v[168:169], v[20:21]
	v_mul_f64 v[20:21], v[58:59], v[158:159]
	s_waitcnt vmcnt(0) lgkmcnt(0)
	s_barrier
	v_fma_f64 v[46:47], v[60:61], v[160:161], v[12:13]
	v_fma_f64 v[26:27], v[40:41], v[178:179], -v[26:27]
	v_add_f64 v[82:83], v[32:33], -v[28:29]
	v_fma_f64 v[50:51], v[56:57], v[156:157], v[20:21]
	v_fma_f64 v[20:21], v[42:43], -0.5, v[144:145]
	v_mul_f64 v[0:1], v[38:39], v[166:167]
	v_mul_f64 v[30:31], v[38:39], v[164:165]
	v_fma_f64 v[38:39], v[44:45], v[170:171], -v[22:23]
	v_fma_f64 v[22:23], v[40:41], v[176:177], v[24:25]
	v_mul_f64 v[12:13], v[54:55], v[154:155]
	v_mul_f64 v[40:41], v[58:59], v[156:157]
	;; [unrolled: 1-line block ×3, first 2 shown]
	v_add_f64 v[58:59], v[16:17], v[8:9]
	v_fma_f64 v[24:25], v[36:37], v[164:165], v[0:1]
	v_fma_f64 v[30:31], v[36:37], v[166:167], -v[30:31]
	v_mul_f64 v[0:1], v[62:63], v[160:161]
	v_add_f64 v[36:37], v[144:145], v[16:17]
	v_fma_f64 v[42:43], v[52:53], v[152:153], v[12:13]
	v_mul_f64 v[12:13], v[72:73], v[150:151]
	v_fma_f64 v[54:55], v[56:57], v[158:159], -v[40:41]
	v_fma_f64 v[52:53], v[52:53], v[154:155], -v[44:45]
	v_mul_f64 v[40:41], v[72:73], v[148:149]
	v_add_f64 v[56:57], v[6:7], -v[10:11]
	v_fma_f64 v[48:49], v[60:61], v[162:163], -v[0:1]
	v_add_f64 v[0:1], v[36:37], v[2:3]
	v_add_f64 v[36:37], v[18:19], -v[14:15]
	v_add_f64 v[60:61], v[16:17], -v[2:3]
	;; [unrolled: 1-line block ×3, first 2 shown]
	v_fma_f64 v[68:69], v[70:71], v[148:149], v[12:13]
	v_fma_f64 v[12:13], v[58:59], -0.5, v[144:145]
	v_fma_f64 v[70:71], v[70:71], v[150:151], -v[40:41]
	v_add_f64 v[58:59], v[146:147], v[18:19]
	v_add_f64 v[0:1], v[0:1], v[4:5]
	v_fma_f64 v[44:45], v[36:37], s[2:3], v[20:21]
	v_fma_f64 v[20:21], v[36:37], s[10:11], v[20:21]
	v_add_f64 v[72:73], v[2:3], -v[16:17]
	v_add_f64 v[58:59], v[58:59], v[6:7]
	v_add_f64 v[0:1], v[0:1], v[8:9]
	v_fma_f64 v[40:41], v[56:57], s[8:9], v[44:45]
	v_add_f64 v[44:45], v[60:61], v[62:63]
	v_add_f64 v[60:61], v[6:7], v[10:11]
	v_fma_f64 v[62:63], v[56:57], s[10:11], v[12:13]
	v_fma_f64 v[12:13], v[56:57], s[2:3], v[12:13]
	;; [unrolled: 1-line block ×3, first 2 shown]
	v_add_f64 v[20:21], v[72:73], v[74:75]
	v_add_f64 v[56:57], v[58:59], v[10:11]
	v_add_f64 v[72:73], v[2:3], -v[4:5]
	v_fma_f64 v[4:5], v[44:45], s[18:19], v[40:41]
	v_fma_f64 v[60:61], v[60:61], -0.5, v[146:147]
	v_fma_f64 v[16:17], v[36:37], s[8:9], v[62:63]
	v_fma_f64 v[36:37], v[36:37], s[16:17], v[12:13]
	v_add_f64 v[62:63], v[18:19], v[14:15]
	v_fma_f64 v[8:9], v[44:45], s[18:19], v[8:9]
	v_add_f64 v[2:3], v[56:57], v[14:15]
	v_add_f64 v[40:41], v[18:19], -v[6:7]
	v_add_f64 v[44:45], v[14:15], -v[10:11]
	v_fma_f64 v[58:59], v[80:81], s[10:11], v[60:61]
	v_fma_f64 v[12:13], v[20:21], s[18:19], v[16:17]
	;; [unrolled: 1-line block ×3, first 2 shown]
	v_fma_f64 v[20:21], v[62:63], -0.5, v[146:147]
	v_add_f64 v[56:57], v[140:141], v[28:29]
	v_add_f64 v[6:7], v[6:7], -v[18:19]
	v_add_f64 v[10:11], v[10:11], -v[14:15]
	v_add_f64 v[18:19], v[40:41], v[44:45]
	v_fma_f64 v[36:37], v[72:73], s[16:17], v[58:59]
	v_fma_f64 v[58:59], v[80:81], s[2:3], v[60:61]
	v_add_f64 v[60:61], v[32:33], v[22:23]
	v_fma_f64 v[62:63], v[72:73], s[2:3], v[20:21]
	v_fma_f64 v[14:15], v[72:73], s[10:11], v[20:21]
	v_add_f64 v[20:21], v[56:57], v[32:33]
	v_add_f64 v[56:57], v[34:35], -v[30:31]
	v_add_f64 v[74:75], v[38:39], v[26:27]
	v_fma_f64 v[40:41], v[72:73], s[8:9], v[58:59]
	v_fma_f64 v[44:45], v[60:61], -0.5, v[140:141]
	v_fma_f64 v[58:59], v[80:81], s[16:17], v[62:63]
	v_add_f64 v[60:61], v[6:7], v[10:11]
	v_fma_f64 v[62:63], v[80:81], s[8:9], v[14:15]
	v_add_f64 v[72:73], v[28:29], v[24:25]
	;; [unrolled: 2-line block ×3, first 2 shown]
	v_fma_f64 v[10:11], v[18:19], s[18:19], v[40:41]
	v_fma_f64 v[36:37], v[56:57], s[2:3], v[44:45]
	v_add_f64 v[40:41], v[38:39], -v[26:27]
	v_fma_f64 v[14:15], v[60:61], s[18:19], v[58:59]
	v_fma_f64 v[18:19], v[60:61], s[18:19], v[62:63]
	v_fma_f64 v[58:59], v[72:73], -0.5, v[140:141]
	v_add_f64 v[60:61], v[28:29], -v[32:33]
	v_add_f64 v[62:63], v[24:25], -v[22:23]
	v_fma_f64 v[44:45], v[56:57], s[10:11], v[44:45]
	v_add_f64 v[72:73], v[142:143], v[34:35]
	v_add_f64 v[140:141], v[22:23], -v[24:25]
	v_fma_f64 v[36:37], v[40:41], s[8:9], v[36:37]
	v_add_f64 v[20:21], v[20:21], v[24:25]
	v_fma_f64 v[80:81], v[40:41], s[10:11], v[58:59]
	v_add_f64 v[60:61], v[60:61], v[62:63]
	v_fma_f64 v[44:45], v[40:41], s[16:17], v[44:45]
	v_fma_f64 v[40:41], v[40:41], s[2:3], v[58:59]
	v_add_f64 v[58:59], v[72:73], v[38:39]
	v_fma_f64 v[62:63], v[74:75], -0.5, v[142:143]
	v_add_f64 v[72:73], v[28:29], -v[24:25]
	v_fma_f64 v[74:75], v[56:57], s[8:9], v[80:81]
	v_add_f64 v[80:81], v[82:83], v[140:141]
	v_fma_f64 v[24:25], v[60:61], s[18:19], v[36:37]
	v_fma_f64 v[28:29], v[60:61], s[18:19], v[44:45]
	v_add_f64 v[44:45], v[34:35], v[30:31]
	v_fma_f64 v[36:37], v[56:57], s[16:17], v[40:41]
	v_add_f64 v[40:41], v[58:59], v[26:27]
	v_fma_f64 v[56:57], v[72:73], s[10:11], v[62:63]
	v_add_f64 v[58:59], v[32:33], -v[22:23]
	v_fma_f64 v[32:33], v[80:81], s[18:19], v[74:75]
	v_add_f64 v[74:75], v[34:35], -v[38:39]
	v_add_f64 v[82:83], v[30:31], -v[26:27]
	v_fma_f64 v[44:45], v[44:45], -0.5, v[142:143]
	v_fma_f64 v[62:63], v[72:73], s[2:3], v[62:63]
	v_add_f64 v[60:61], v[50:51], v[42:43]
	v_add_f64 v[22:23], v[40:41], v[30:31]
	v_fma_f64 v[40:41], v[58:59], s[16:17], v[56:57]
	v_add_f64 v[56:57], v[136:137], v[46:47]
	v_add_f64 v[34:35], v[38:39], -v[34:35]
	v_add_f64 v[74:75], v[74:75], v[82:83]
	v_fma_f64 v[82:83], v[58:59], s[2:3], v[44:45]
	v_add_f64 v[26:27], v[26:27], -v[30:31]
	v_fma_f64 v[30:31], v[58:59], s[10:11], v[44:45]
	v_fma_f64 v[58:59], v[58:59], s[8:9], v[62:63]
	v_add_f64 v[62:63], v[46:47], v[68:69]
	v_fma_f64 v[36:37], v[80:81], s[18:19], v[36:37]
	v_fma_f64 v[60:61], v[60:61], -0.5, v[136:137]
	v_add_f64 v[80:81], v[48:49], -v[70:71]
	v_add_f64 v[38:39], v[56:57], v[50:51]
	v_add_f64 v[56:57], v[54:55], -v[52:53]
	v_add_f64 v[140:141], v[46:47], -v[50:51]
	;; [unrolled: 1-line block ×3, first 2 shown]
	v_fma_f64 v[82:83], v[72:73], s[16:17], v[82:83]
	v_add_f64 v[144:145], v[34:35], v[26:27]
	v_fma_f64 v[72:73], v[72:73], s[8:9], v[30:31]
	v_fma_f64 v[62:63], v[62:63], -0.5, v[136:137]
	v_fma_f64 v[44:45], v[80:81], s[2:3], v[60:61]
	v_add_f64 v[146:147], v[38:39], v[42:43]
	v_fma_f64 v[26:27], v[74:75], s[18:19], v[40:41]
	v_add_f64 v[140:141], v[140:141], v[142:143]
	v_fma_f64 v[30:31], v[74:75], s[18:19], v[58:59]
	v_fma_f64 v[34:35], v[144:145], s[18:19], v[82:83]
	;; [unrolled: 1-line block ×5, first 2 shown]
	v_add_f64 v[74:75], v[50:51], -v[46:47]
	v_add_f64 v[82:83], v[48:49], v[70:71]
	v_add_f64 v[136:137], v[42:43], -v[68:69]
	v_add_f64 v[142:143], v[138:139], v[48:49]
	v_fma_f64 v[44:45], v[56:57], s[8:9], v[44:45]
	v_add_f64 v[40:41], v[146:147], v[68:69]
	v_add_f64 v[58:59], v[54:55], v[52:53]
	v_add_f64 v[46:47], v[46:47], -v[68:69]
	v_fma_f64 v[60:61], v[56:57], s[16:17], v[60:61]
	v_fma_f64 v[68:69], v[80:81], s[8:9], v[72:73]
	v_add_f64 v[42:43], v[50:51], -v[42:43]
	v_fma_f64 v[50:51], v[82:83], -0.5, v[138:139]
	v_add_f64 v[72:73], v[74:75], v[136:137]
	v_fma_f64 v[56:57], v[56:57], s[2:3], v[62:63]
	v_add_f64 v[62:63], v[142:143], v[54:55]
	v_add_f64 v[82:83], v[48:49], -v[54:55]
	v_add_f64 v[136:137], v[70:71], -v[52:53]
	v_add_f64 v[48:49], v[54:55], -v[48:49]
	v_add_f64 v[54:55], v[52:53], -v[70:71]
	v_fma_f64 v[58:59], v[58:59], -0.5, v[138:139]
	v_fma_f64 v[138:139], v[42:43], s[2:3], v[50:51]
	v_fma_f64 v[56:57], v[80:81], s[16:17], v[56:57]
	;; [unrolled: 1-line block ×3, first 2 shown]
	v_add_f64 v[62:63], v[62:63], v[52:53]
	v_add_f64 v[80:81], v[82:83], v[136:137]
	v_fma_f64 v[44:45], v[140:141], s[18:19], v[44:45]
	v_add_f64 v[136:137], v[48:49], v[54:55]
	v_fma_f64 v[48:49], v[140:141], s[18:19], v[60:61]
	buffer_load_dword v60, off, s[60:63], 0 offset:148 ; 4-byte Folded Reload
	v_fma_f64 v[74:75], v[46:47], s[10:11], v[58:59]
	v_fma_f64 v[58:59], v[46:47], s[2:3], v[58:59]
	;; [unrolled: 1-line block ×6, first 2 shown]
	s_waitcnt vmcnt(0)
	ds_write_b128 v60, v[0:3]
	ds_write_b128 v60, v[4:7] offset:272
	ds_write_b128 v60, v[12:15] offset:544
	;; [unrolled: 1-line block ×4, first 2 shown]
	buffer_load_dword v0, off, s[60:63], 0 offset:152 ; 4-byte Folded Reload
	v_fma_f64 v[74:75], v[42:43], s[16:17], v[74:75]
	v_fma_f64 v[58:59], v[42:43], s[8:9], v[58:59]
	v_add_f64 v[42:43], v[62:63], v[70:71]
	v_fma_f64 v[54:55], v[136:137], s[18:19], v[82:83]
	v_fma_f64 v[46:47], v[80:81], s[18:19], v[74:75]
	;; [unrolled: 1-line block ×4, first 2 shown]
	s_waitcnt vmcnt(0)
	ds_write_b128 v0, v[20:23]
	ds_write_b128 v0, v[24:27] offset:272
	ds_write_b128 v0, v[32:35] offset:544
	;; [unrolled: 1-line block ×4, first 2 shown]
	ds_write_b128 v238, v[40:43]
	ds_write_b128 v238, v[44:47] offset:272
	ds_write_b128 v238, v[52:55] offset:544
	;; [unrolled: 1-line block ×4, first 2 shown]
	s_and_saveexec_b64 s[20:21], s[0:1]
	s_cbranch_execz .LBB0_21
; %bb.20:
	buffer_load_dword v30, off, s[60:63], 0 offset:220 ; 4-byte Folded Reload
	buffer_load_dword v31, off, s[60:63], 0 offset:224 ; 4-byte Folded Reload
	;; [unrolled: 1-line block ×28, first 2 shown]
	s_waitcnt vmcnt(22)
	v_mul_f64 v[0:1], v[32:33], v[34:35]
	s_waitcnt vmcnt(16)
	v_mul_f64 v[2:3], v[20:21], v[208:209]
	;; [unrolled: 2-line block ×4, first 2 shown]
	v_mul_f64 v[8:9], v[32:33], v[36:37]
	s_waitcnt vmcnt(0)
	v_mul_f64 v[10:11], v[28:29], v[40:41]
	v_mul_f64 v[12:13], v[20:21], v[210:211]
	;; [unrolled: 1-line block ×3, first 2 shown]
	v_fma_f64 v[0:1], v[30:31], v[36:37], -v[0:1]
	v_fma_f64 v[2:3], v[18:19], v[210:211], -v[2:3]
	;; [unrolled: 1-line block ×4, first 2 shown]
	v_fma_f64 v[8:9], v[30:31], v[34:35], v[8:9]
	v_fma_f64 v[10:11], v[26:27], v[38:39], v[10:11]
	;; [unrolled: 1-line block ×4, first 2 shown]
	v_add_f64 v[14:15], v[0:1], -v[2:3]
	v_add_f64 v[6:7], v[2:3], v[4:5]
	v_add_f64 v[26:27], v[0:1], v[16:17]
	v_add_f64 v[18:19], v[16:17], -v[4:5]
	v_add_f64 v[22:23], v[8:9], -v[10:11]
	v_add_f64 v[46:47], v[204:205], v[12:13]
	v_add_f64 v[24:25], v[12:13], -v[20:21]
	v_add_f64 v[28:29], v[2:3], -v[0:1]
	v_add_f64 v[32:33], v[206:207], v[2:3]
	v_fma_f64 v[6:7], v[6:7], -0.5, v[206:207]
	v_add_f64 v[34:35], v[8:9], -v[12:13]
	v_add_f64 v[38:39], v[2:3], -v[4:5]
	v_fma_f64 v[2:3], v[26:27], -0.5, v[206:207]
	v_add_f64 v[26:27], v[12:13], v[20:21]
	v_add_f64 v[44:45], v[8:9], v[10:11]
	v_add_f64 v[12:13], v[12:13], -v[8:9]
	v_add_f64 v[8:9], v[46:47], v[8:9]
	v_fma_f64 v[40:41], v[22:23], s[10:11], v[6:7]
	v_fma_f64 v[6:7], v[22:23], s[2:3], v[6:7]
	v_add_f64 v[42:43], v[0:1], -v[16:17]
	v_add_f64 v[14:15], v[14:15], v[18:19]
	v_fma_f64 v[18:19], v[24:25], s[2:3], v[2:3]
	v_fma_f64 v[2:3], v[24:25], s[10:11], v[2:3]
	v_add_f64 v[0:1], v[32:33], v[0:1]
	v_add_f64 v[8:9], v[8:9], v[10:11]
	v_fma_f64 v[40:41], v[24:25], s[8:9], v[40:41]
	v_fma_f64 v[6:7], v[24:25], s[16:17], v[6:7]
	v_add_f64 v[30:31], v[4:5], -v[16:17]
	v_add_f64 v[36:37], v[10:11], -v[20:21]
	v_fma_f64 v[18:19], v[22:23], s[8:9], v[18:19]
	v_fma_f64 v[22:23], v[22:23], s[16:17], v[2:3]
	v_add_f64 v[0:1], v[0:1], v[16:17]
	v_add_f64 v[16:17], v[8:9], v[20:21]
	v_fma_f64 v[2:3], v[14:15], s[18:19], v[40:41]
	v_fma_f64 v[6:7], v[14:15], s[18:19], v[6:7]
	v_add_f64 v[14:15], v[20:21], -v[10:11]
	buffer_load_dword v20, off, s[60:63], 0 ; 4-byte Folded Reload
	buffer_load_dword v21, off, s[60:63], 0 offset:60 ; 4-byte Folded Reload
	v_add_f64 v[24:25], v[28:29], v[30:31]
	v_fma_f64 v[28:29], v[44:45], -0.5, v[204:205]
	v_fma_f64 v[26:27], v[26:27], -0.5, v[204:205]
	v_add_f64 v[34:35], v[34:35], v[36:37]
	v_add_f64 v[36:37], v[12:13], v[14:15]
	v_fma_f64 v[10:11], v[24:25], s[18:19], v[18:19]
	v_fma_f64 v[30:31], v[38:39], s[2:3], v[28:29]
	;; [unrolled: 1-line block ×5, first 2 shown]
	v_add_f64 v[18:19], v[0:1], v[4:5]
	v_fma_f64 v[14:15], v[24:25], s[18:19], v[22:23]
	v_fma_f64 v[12:13], v[42:43], s[8:9], v[30:31]
	;; [unrolled: 1-line block ×9, first 2 shown]
	s_waitcnt vmcnt(0)
	v_lshl_add_u32 v20, v21, 4, v20
	ds_write_b128 v20, v[16:19] offset:20400
	ds_write_b128 v20, v[12:15] offset:20672
	;; [unrolled: 1-line block ×5, first 2 shown]
.LBB0_21:
	s_or_b64 exec, exec, s[20:21]
	s_waitcnt lgkmcnt(0)
	s_barrier
	ds_read_b128 v[0:3], v255
	ds_read_b128 v[4:7], v255 offset:1360
	ds_read_b128 v[8:11], v255 offset:2720
	;; [unrolled: 1-line block ×13, first 2 shown]
	s_waitcnt lgkmcnt(12)
	v_mul_f64 v[68:69], v[102:103], v[6:7]
	s_waitcnt lgkmcnt(11)
	v_mul_f64 v[72:73], v[86:87], v[10:11]
	v_mul_f64 v[74:75], v[86:87], v[8:9]
	;; [unrolled: 1-line block ×3, first 2 shown]
	s_waitcnt lgkmcnt(10)
	v_mul_f64 v[80:81], v[78:79], v[14:15]
	v_mul_f64 v[78:79], v[78:79], v[12:13]
	ds_read_b128 v[56:59], v255 offset:19040
	ds_read_b128 v[60:63], v255 offset:20400
	s_mov_b32 s0, 0x667f3bcd
	v_fma_f64 v[4:5], v[100:101], v[4:5], v[68:69]
	v_fma_f64 v[8:9], v[84:85], v[8:9], v[72:73]
	v_fma_f64 v[10:11], v[84:85], v[10:11], -v[74:75]
	s_waitcnt lgkmcnt(11)
	v_mul_f64 v[68:69], v[66:67], v[18:19]
	v_mul_f64 v[66:67], v[66:67], v[16:17]
	s_waitcnt lgkmcnt(10)
	v_mul_f64 v[72:73], v[118:119], v[20:21]
	s_waitcnt lgkmcnt(9)
	v_mul_f64 v[74:75], v[98:99], v[26:27]
	v_fma_f64 v[6:7], v[100:101], v[6:7], -v[70:71]
	v_fma_f64 v[12:13], v[76:77], v[12:13], v[80:81]
	v_fma_f64 v[14:15], v[76:77], v[14:15], -v[78:79]
	v_mul_f64 v[70:71], v[118:119], v[22:23]
	v_mul_f64 v[76:77], v[98:99], v[24:25]
	v_fma_f64 v[16:17], v[64:65], v[16:17], v[68:69]
	v_fma_f64 v[18:19], v[64:65], v[18:19], -v[66:67]
	v_fma_f64 v[22:23], v[116:117], v[22:23], -v[72:73]
	v_fma_f64 v[24:25], v[96:97], v[24:25], v[74:75]
	s_waitcnt lgkmcnt(7)
	v_mul_f64 v[64:65], v[90:91], v[34:35]
	v_mul_f64 v[66:67], v[90:91], v[32:33]
	s_waitcnt lgkmcnt(5)
	v_mul_f64 v[72:73], v[114:115], v[42:43]
	v_mul_f64 v[74:75], v[114:115], v[40:41]
	;; [unrolled: 1-line block ×3, first 2 shown]
	v_fma_f64 v[26:27], v[96:97], v[26:27], -v[76:77]
	v_mul_f64 v[80:81], v[94:95], v[28:29]
	v_fma_f64 v[20:21], v[116:117], v[20:21], v[70:71]
	v_fma_f64 v[32:33], v[88:89], v[32:33], v[64:65]
	v_fma_f64 v[34:35], v[88:89], v[34:35], -v[66:67]
	v_fma_f64 v[40:41], v[112:113], v[40:41], v[72:73]
	v_fma_f64 v[42:43], v[112:113], v[42:43], -v[74:75]
	s_waitcnt lgkmcnt(3)
	v_mul_f64 v[64:65], v[106:107], v[50:51]
	v_mul_f64 v[66:67], v[106:107], v[48:49]
	s_waitcnt lgkmcnt(1)
	v_mul_f64 v[72:73], v[126:127], v[58:59]
	v_mul_f64 v[74:75], v[126:127], v[56:57]
	v_fma_f64 v[28:29], v[92:93], v[28:29], v[78:79]
	v_mul_f64 v[68:69], v[130:131], v[38:39]
	v_mul_f64 v[70:71], v[130:131], v[36:37]
	;; [unrolled: 1-line block ×3, first 2 shown]
	v_fma_f64 v[48:49], v[104:105], v[48:49], v[64:65]
	v_fma_f64 v[50:51], v[104:105], v[50:51], -v[66:67]
	v_fma_f64 v[56:57], v[124:125], v[56:57], v[72:73]
	v_fma_f64 v[58:59], v[124:125], v[58:59], -v[74:75]
	v_mul_f64 v[78:79], v[110:111], v[44:45]
	v_add_f64 v[32:33], v[0:1], -v[32:33]
	v_add_f64 v[34:35], v[2:3], -v[34:35]
	;; [unrolled: 1-line block ×8, first 2 shown]
	v_fma_f64 v[36:37], v[128:129], v[36:37], v[68:69]
	v_fma_f64 v[38:39], v[128:129], v[38:39], -v[70:71]
	v_fma_f64 v[44:45], v[108:109], v[44:45], v[76:77]
	v_fma_f64 v[46:47], v[108:109], v[46:47], -v[78:79]
	v_mul_f64 v[68:69], v[134:135], v[54:55]
	v_mul_f64 v[70:71], v[134:135], v[52:53]
	s_waitcnt lgkmcnt(0)
	v_mul_f64 v[76:77], v[122:123], v[62:63]
	v_mul_f64 v[78:79], v[122:123], v[60:61]
	v_fma_f64 v[0:1], v[0:1], 2.0, -v[32:33]
	v_fma_f64 v[2:3], v[2:3], 2.0, -v[34:35]
	;; [unrolled: 1-line block ×8, first 2 shown]
	v_fma_f64 v[30:31], v[92:93], v[30:31], -v[80:81]
	v_fma_f64 v[52:53], v[132:133], v[52:53], v[68:69]
	v_fma_f64 v[54:55], v[132:133], v[54:55], -v[70:71]
	v_fma_f64 v[60:61], v[120:121], v[60:61], v[76:77]
	v_fma_f64 v[62:63], v[120:121], v[62:63], -v[78:79]
	v_add_f64 v[16:17], v[0:1], -v[16:17]
	v_add_f64 v[18:19], v[2:3], -v[18:19]
	;; [unrolled: 1-line block ×12, first 2 shown]
	v_add_f64 v[50:51], v[32:33], v[50:51]
	v_add_f64 v[48:49], v[34:35], -v[48:49]
	v_add_f64 v[58:59], v[40:41], v[58:59]
	v_add_f64 v[56:57], v[42:43], -v[56:57]
	v_fma_f64 v[0:1], v[0:1], 2.0, -v[16:17]
	v_fma_f64 v[2:3], v[2:3], 2.0, -v[18:19]
	;; [unrolled: 1-line block ×12, first 2 shown]
	v_add_f64 v[54:55], v[36:37], v[54:55]
	v_add_f64 v[52:53], v[38:39], -v[52:53]
	v_add_f64 v[62:63], v[44:45], v[62:63]
	v_add_f64 v[60:61], v[46:47], -v[60:61]
	s_mov_b32 s1, 0xbfe6a09e
	s_mov_b32 s3, 0x3fe6a09e
	;; [unrolled: 1-line block ×3, first 2 shown]
	v_add_f64 v[68:69], v[0:1], -v[8:9]
	v_add_f64 v[70:71], v[2:3], -v[10:11]
	v_fma_f64 v[8:9], v[58:59], s[2:3], v[50:51]
	v_fma_f64 v[10:11], v[56:57], s[2:3], v[48:49]
	v_fma_f64 v[32:33], v[32:33], 2.0, -v[50:51]
	v_fma_f64 v[34:35], v[34:35], 2.0, -v[48:49]
	;; [unrolled: 1-line block ×4, first 2 shown]
	v_add_f64 v[20:21], v[4:5], -v[20:21]
	v_add_f64 v[22:23], v[6:7], -v[22:23]
	v_add_f64 v[28:29], v[12:13], -v[28:29]
	v_add_f64 v[30:31], v[14:15], -v[30:31]
	v_fma_f64 v[36:37], v[36:37], 2.0, -v[54:55]
	v_fma_f64 v[38:39], v[38:39], 2.0, -v[52:53]
	;; [unrolled: 1-line block ×4, first 2 shown]
	v_fma_f64 v[76:77], v[56:57], s[2:3], v[8:9]
	v_fma_f64 v[78:79], v[58:59], s[0:1], v[10:11]
	;; [unrolled: 1-line block ×4, first 2 shown]
	v_fma_f64 v[4:5], v[4:5], 2.0, -v[20:21]
	v_fma_f64 v[6:7], v[6:7], 2.0, -v[22:23]
	;; [unrolled: 1-line block ×4, first 2 shown]
	v_fma_f64 v[64:65], v[40:41], s[0:1], v[32:33]
	v_fma_f64 v[66:67], v[42:43], s[0:1], v[34:35]
	v_add_f64 v[72:73], v[16:17], v[26:27]
	v_add_f64 v[74:75], v[18:19], -v[24:25]
	v_fma_f64 v[24:25], v[0:1], 2.0, -v[68:69]
	v_fma_f64 v[26:27], v[2:3], 2.0, -v[70:71]
	v_fma_f64 v[0:1], v[44:45], s[0:1], v[36:37]
	v_fma_f64 v[2:3], v[46:47], s[0:1], v[38:39]
	v_add_f64 v[80:81], v[20:21], v[30:31]
	v_add_f64 v[82:83], v[22:23], -v[28:29]
	v_fma_f64 v[60:61], v[60:61], s[2:3], v[8:9]
	v_fma_f64 v[62:63], v[62:63], s[0:1], v[10:11]
	;; [unrolled: 1-line block ×4, first 2 shown]
	v_add_f64 v[56:57], v[4:5], -v[12:13]
	v_add_f64 v[58:59], v[6:7], -v[14:15]
	v_fma_f64 v[46:47], v[46:47], s[2:3], v[0:1]
	v_fma_f64 v[44:45], v[44:45], s[0:1], v[2:3]
	v_fma_f64 v[40:41], v[16:17], 2.0, -v[72:73]
	v_fma_f64 v[42:43], v[18:19], 2.0, -v[74:75]
	;; [unrolled: 1-line block ×14, first 2 shown]
	s_mov_b32 s10, 0xa6aea964
	s_mov_b32 s11, 0x3fd87de2
	v_fma_f64 v[20:21], v[10:11], s[0:1], v[40:41]
	v_fma_f64 v[22:23], v[8:9], s[0:1], v[42:43]
	s_mov_b32 s17, 0xbfd87de2
	s_mov_b32 s16, s10
	v_fma_f64 v[28:29], v[14:15], s[16:17], v[50:51]
	v_fma_f64 v[30:31], v[12:13], s[16:17], v[48:49]
	;; [unrolled: 4-line block ×3, first 2 shown]
	v_add_f64 v[0:1], v[24:25], -v[0:1]
	v_add_f64 v[2:3], v[26:27], -v[2:3]
	v_fma_f64 v[8:9], v[8:9], s[2:3], v[20:21]
	v_fma_f64 v[10:11], v[10:11], s[0:1], v[22:23]
	s_mov_b32 s19, 0x3fed906b
	s_mov_b32 s18, s8
	v_fma_f64 v[12:13], v[12:13], s[18:19], v[28:29]
	v_fma_f64 v[14:15], v[14:15], s[8:9], v[30:31]
	v_fma_f64 v[4:5], v[4:5], s[10:11], v[16:17]
	v_fma_f64 v[6:7], v[6:7], s[16:17], v[18:19]
	v_fma_f64 v[36:37], v[46:47], s[10:11], v[64:65]
	v_fma_f64 v[38:39], v[44:45], s[10:11], v[66:67]
	v_fma_f64 v[16:17], v[24:25], 2.0, -v[0:1]
	v_fma_f64 v[18:19], v[26:27], 2.0, -v[2:3]
	;; [unrolled: 1-line block ×4, first 2 shown]
	v_fma_f64 v[40:41], v[80:81], s[2:3], v[72:73]
	v_fma_f64 v[42:43], v[82:83], s[2:3], v[74:75]
	v_fma_f64 v[28:29], v[50:51], 2.0, -v[12:13]
	v_fma_f64 v[30:31], v[48:49], 2.0, -v[14:15]
	v_fma_f64 v[48:49], v[60:61], s[18:19], v[76:77]
	v_fma_f64 v[50:51], v[62:63], s[18:19], v[78:79]
	v_fma_f64 v[20:21], v[32:33], 2.0, -v[4:5]
	v_fma_f64 v[22:23], v[34:35], 2.0, -v[6:7]
	v_add_f64 v[32:33], v[68:69], v[58:59]
	v_add_f64 v[34:35], v[70:71], -v[56:57]
	v_fma_f64 v[36:37], v[44:45], s[18:19], v[36:37]
	v_fma_f64 v[38:39], v[46:47], s[8:9], v[38:39]
	;; [unrolled: 1-line block ×6, first 2 shown]
	v_fma_f64 v[48:49], v[68:69], 2.0, -v[32:33]
	v_fma_f64 v[50:51], v[70:71], 2.0, -v[34:35]
	;; [unrolled: 1-line block ×8, first 2 shown]
	ds_write_b128 v239, v[16:19]
	ds_write_b128 v239, v[20:23] offset:1360
	ds_write_b128 v239, v[24:27] offset:2720
	;; [unrolled: 1-line block ×15, first 2 shown]
	s_waitcnt lgkmcnt(0)
	s_barrier
	s_and_b64 exec, exec, vcc
	s_cbranch_execz .LBB0_23
; %bb.22:
	buffer_load_dword v21, off, s[60:63], 0 offset:56 ; 4-byte Folded Reload
	buffer_load_dword v25, off, s[60:63], 0 offset:4 ; 4-byte Folded Reload
	ds_read_b128 v[4:7], v239
	ds_read_b128 v[8:11], v239 offset:1280
	v_mad_u64_u32 v[12:13], s[0:1], s6, v244, 0
	s_mul_i32 s3, s5, 0x500
	s_mul_hi_u32 s6, s4, 0x500
	s_mul_i32 s2, s4, 0x500
	s_add_i32 s3, s6, s3
	s_movk_i32 s6, 0x1000
	s_mul_i32 s8, s5, 0xa00
	s_movk_i32 s9, 0x3000
	s_waitcnt vmcnt(1)
	global_load_dwordx4 v[0:3], v21, s[12:13]
	s_waitcnt vmcnt(1)
	v_mad_u64_u32 v[14:15], s[0:1], s4, v25, 0
	v_or_b32_e32 v24, 0x280, v25
	v_mad_u64_u32 v[18:19], s[0:1], s7, v244, v[13:14]
	v_mov_b32_e32 v13, v18
	s_waitcnt vmcnt(0) lgkmcnt(1)
	v_mul_f64 v[16:17], v[6:7], v[2:3]
	v_mul_f64 v[2:3], v[4:5], v[2:3]
	v_fma_f64 v[4:5], v[4:5], v[0:1], v[16:17]
	v_fma_f64 v[0:1], v[0:1], v[6:7], -v[2:3]
	v_mad_u64_u32 v[19:20], s[0:1], s5, v25, v[15:16]
	s_mov_b32 s0, 0x18181818
	s_mov_b32 s1, 0x3f481818
	v_lshlrev_b64 v[6:7], 4, v[12:13]
	v_mov_b32_e32 v15, v19
	v_mul_f64 v[2:3], v[4:5], s[0:1]
	v_mul_f64 v[4:5], v[0:1], s[0:1]
	v_mov_b32_e32 v16, s15
	v_lshlrev_b64 v[12:13], 4, v[14:15]
	v_add_co_u32_e32 v0, vcc, s14, v6
	v_addc_co_u32_e32 v1, vcc, v16, v7, vcc
	v_add_co_u32_e32 v6, vcc, v0, v12
	v_addc_co_u32_e32 v7, vcc, v1, v13, vcc
	global_store_dwordx4 v[6:7], v[2:5], off
	global_load_dwordx4 v[2:5], v21, s[12:13] offset:1280
	v_add_co_u32_e32 v14, vcc, s2, v6
	s_waitcnt vmcnt(0) lgkmcnt(0)
	v_mul_f64 v[12:13], v[10:11], v[4:5]
	v_mul_f64 v[4:5], v[8:9], v[4:5]
	v_fma_f64 v[8:9], v[8:9], v[2:3], v[12:13]
	v_fma_f64 v[4:5], v[2:3], v[10:11], -v[4:5]
	v_mul_f64 v[2:3], v[8:9], s[0:1]
	v_mul_f64 v[4:5], v[4:5], s[0:1]
	v_mov_b32_e32 v8, s3
	v_addc_co_u32_e32 v15, vcc, v7, v8, vcc
	global_store_dwordx4 v[14:15], v[2:5], off
	global_load_dwordx4 v[2:5], v21, s[12:13] offset:2560
	ds_read_b128 v[6:9], v239 offset:2560
	ds_read_b128 v[10:13], v239 offset:3840
	s_waitcnt vmcnt(0) lgkmcnt(1)
	v_mul_f64 v[16:17], v[8:9], v[4:5]
	v_mul_f64 v[4:5], v[6:7], v[4:5]
	v_fma_f64 v[6:7], v[6:7], v[2:3], v[16:17]
	v_fma_f64 v[4:5], v[2:3], v[8:9], -v[4:5]
	v_mul_f64 v[2:3], v[6:7], s[0:1]
	v_mul_f64 v[4:5], v[4:5], s[0:1]
	v_mov_b32_e32 v7, s3
	v_add_co_u32_e32 v6, vcc, s2, v14
	v_addc_co_u32_e32 v7, vcc, v15, v7, vcc
	v_mov_b32_e32 v14, s13
	v_add_co_u32_e32 v22, vcc, s12, v21
	global_store_dwordx4 v[6:7], v[2:5], off
	global_load_dwordx4 v[2:5], v21, s[12:13] offset:3840
	v_addc_co_u32_e32 v23, vcc, 0, v14, vcc
	v_add_co_u32_e32 v14, vcc, s6, v22
	v_addc_co_u32_e32 v15, vcc, 0, v23, vcc
	v_add_co_u32_e32 v16, vcc, s2, v6
	s_movk_i32 s6, 0x2000
	s_waitcnt vmcnt(0) lgkmcnt(0)
	v_mul_f64 v[8:9], v[12:13], v[4:5]
	v_mul_f64 v[4:5], v[10:11], v[4:5]
	v_fma_f64 v[8:9], v[10:11], v[2:3], v[8:9]
	v_fma_f64 v[4:5], v[2:3], v[12:13], -v[4:5]
	v_mov_b32_e32 v10, s3
	v_addc_co_u32_e32 v17, vcc, v7, v10, vcc
	v_mul_f64 v[2:3], v[8:9], s[0:1]
	v_mul_f64 v[4:5], v[4:5], s[0:1]
	global_store_dwordx4 v[16:17], v[2:5], off
	global_load_dwordx4 v[2:5], v[14:15], off offset:1024
	ds_read_b128 v[6:9], v239 offset:5120
	ds_read_b128 v[10:13], v239 offset:6400
	s_waitcnt vmcnt(0) lgkmcnt(1)
	v_mul_f64 v[18:19], v[8:9], v[4:5]
	v_mul_f64 v[4:5], v[6:7], v[4:5]
	v_fma_f64 v[6:7], v[6:7], v[2:3], v[18:19]
	v_fma_f64 v[4:5], v[2:3], v[8:9], -v[4:5]
	v_mul_f64 v[2:3], v[6:7], s[0:1]
	v_mul_f64 v[4:5], v[4:5], s[0:1]
	v_mov_b32_e32 v7, s3
	v_add_co_u32_e32 v6, vcc, s2, v16
	v_addc_co_u32_e32 v7, vcc, v17, v7, vcc
	v_add_co_u32_e32 v16, vcc, s2, v6
	global_store_dwordx4 v[6:7], v[2:5], off
	global_load_dwordx4 v[2:5], v[14:15], off offset:2304
	s_waitcnt vmcnt(0) lgkmcnt(0)
	v_mul_f64 v[8:9], v[12:13], v[4:5]
	v_mul_f64 v[4:5], v[10:11], v[4:5]
	v_fma_f64 v[8:9], v[10:11], v[2:3], v[8:9]
	v_fma_f64 v[4:5], v[2:3], v[12:13], -v[4:5]
	v_mul_f64 v[2:3], v[8:9], s[0:1]
	v_mul_f64 v[4:5], v[4:5], s[0:1]
	v_mov_b32_e32 v8, s3
	v_addc_co_u32_e32 v17, vcc, v7, v8, vcc
	global_store_dwordx4 v[16:17], v[2:5], off
	global_load_dwordx4 v[2:5], v[14:15], off offset:3584
	ds_read_b128 v[6:9], v239 offset:7680
	ds_read_b128 v[10:13], v239 offset:8960
	s_waitcnt vmcnt(0) lgkmcnt(1)
	v_mul_f64 v[14:15], v[8:9], v[4:5]
	v_mul_f64 v[4:5], v[6:7], v[4:5]
	v_fma_f64 v[6:7], v[6:7], v[2:3], v[14:15]
	v_fma_f64 v[4:5], v[2:3], v[8:9], -v[4:5]
	v_add_co_u32_e32 v14, vcc, s6, v22
	v_addc_co_u32_e32 v15, vcc, 0, v23, vcc
	v_mov_b32_e32 v8, s3
	v_mad_u64_u32 v[20:21], s[6:7], s4, v24, 0
	v_mul_f64 v[2:3], v[6:7], s[0:1]
	v_mul_f64 v[4:5], v[4:5], s[0:1]
	v_add_co_u32_e32 v6, vcc, s2, v16
	v_addc_co_u32_e32 v7, vcc, v17, v8, vcc
	v_add_co_u32_e32 v16, vcc, s2, v6
	global_store_dwordx4 v[6:7], v[2:5], off
	global_load_dwordx4 v[2:5], v[14:15], off offset:768
	s_waitcnt vmcnt(0) lgkmcnt(0)
	v_mul_f64 v[8:9], v[12:13], v[4:5]
	v_mul_f64 v[4:5], v[10:11], v[4:5]
	v_fma_f64 v[8:9], v[10:11], v[2:3], v[8:9]
	v_fma_f64 v[4:5], v[2:3], v[12:13], -v[4:5]
	v_mul_f64 v[2:3], v[8:9], s[0:1]
	v_mul_f64 v[4:5], v[4:5], s[0:1]
	v_mov_b32_e32 v9, s3
	v_addc_co_u32_e32 v17, vcc, v7, v9, vcc
	v_lshlrev_b32_e32 v8, 4, v24
	global_store_dwordx4 v[16:17], v[2:5], off
	global_load_dwordx4 v[2:5], v8, s[12:13]
	ds_read_b128 v[6:9], v239 offset:10240
	ds_read_b128 v[10:13], v239 offset:11520
	s_waitcnt vmcnt(0) lgkmcnt(1)
	v_mul_f64 v[18:19], v[8:9], v[4:5]
	v_mul_f64 v[4:5], v[6:7], v[4:5]
	v_fma_f64 v[6:7], v[6:7], v[2:3], v[18:19]
	v_fma_f64 v[4:5], v[2:3], v[8:9], -v[4:5]
	v_mov_b32_e32 v2, v21
	v_mad_u64_u32 v[8:9], s[6:7], s5, v24, v[2:3]
	v_mov_b32_e32 v21, v8
	v_mul_f64 v[2:3], v[6:7], s[0:1]
	v_mul_f64 v[4:5], v[4:5], s[0:1]
	v_lshlrev_b64 v[6:7], 4, v[20:21]
	v_mov_b32_e32 v8, 0xa00
	v_add_co_u32_e32 v6, vcc, v0, v6
	v_addc_co_u32_e32 v7, vcc, v1, v7, vcc
	global_store_dwordx4 v[6:7], v[2:5], off
	global_load_dwordx4 v[2:5], v[14:15], off offset:3328
	v_mad_u64_u32 v[14:15], s[6:7], s4, v8, v[16:17]
	v_add_co_u32_e32 v16, vcc, s9, v22
	v_add_u32_e32 v15, s8, v15
	v_addc_co_u32_e32 v17, vcc, 0, v23, vcc
	s_movk_i32 s6, 0x4000
	s_waitcnt vmcnt(0) lgkmcnt(0)
	v_mul_f64 v[6:7], v[12:13], v[4:5]
	v_mul_f64 v[4:5], v[10:11], v[4:5]
	v_fma_f64 v[6:7], v[10:11], v[2:3], v[6:7]
	v_fma_f64 v[4:5], v[2:3], v[12:13], -v[4:5]
	v_mul_f64 v[2:3], v[6:7], s[0:1]
	v_mul_f64 v[4:5], v[4:5], s[0:1]
	global_store_dwordx4 v[14:15], v[2:5], off
	global_load_dwordx4 v[2:5], v[16:17], off offset:512
	ds_read_b128 v[6:9], v239 offset:12800
	ds_read_b128 v[10:13], v239 offset:14080
	s_waitcnt vmcnt(0) lgkmcnt(1)
	v_mul_f64 v[18:19], v[8:9], v[4:5]
	v_mul_f64 v[4:5], v[6:7], v[4:5]
	v_fma_f64 v[6:7], v[6:7], v[2:3], v[18:19]
	v_fma_f64 v[4:5], v[2:3], v[8:9], -v[4:5]
	v_mul_f64 v[2:3], v[6:7], s[0:1]
	v_mul_f64 v[4:5], v[4:5], s[0:1]
	v_mov_b32_e32 v7, s3
	v_add_co_u32_e32 v6, vcc, s2, v14
	v_addc_co_u32_e32 v7, vcc, v15, v7, vcc
	v_add_co_u32_e32 v14, vcc, s2, v6
	global_store_dwordx4 v[6:7], v[2:5], off
	global_load_dwordx4 v[2:5], v[16:17], off offset:1792
	s_waitcnt vmcnt(0) lgkmcnt(0)
	v_mul_f64 v[8:9], v[12:13], v[4:5]
	v_mul_f64 v[4:5], v[10:11], v[4:5]
	v_fma_f64 v[8:9], v[10:11], v[2:3], v[8:9]
	v_fma_f64 v[4:5], v[2:3], v[12:13], -v[4:5]
	v_mul_f64 v[2:3], v[8:9], s[0:1]
	v_mul_f64 v[4:5], v[4:5], s[0:1]
	v_mov_b32_e32 v8, s3
	v_addc_co_u32_e32 v15, vcc, v7, v8, vcc
	global_store_dwordx4 v[14:15], v[2:5], off
	global_load_dwordx4 v[2:5], v[16:17], off offset:3072
	ds_read_b128 v[6:9], v239 offset:15360
	ds_read_b128 v[10:13], v239 offset:16640
	s_waitcnt vmcnt(0) lgkmcnt(1)
	v_mul_f64 v[16:17], v[8:9], v[4:5]
	v_mul_f64 v[4:5], v[6:7], v[4:5]
	v_fma_f64 v[6:7], v[6:7], v[2:3], v[16:17]
	v_fma_f64 v[4:5], v[2:3], v[8:9], -v[4:5]
	v_add_co_u32_e32 v16, vcc, s6, v22
	v_addc_co_u32_e32 v17, vcc, 0, v23, vcc
	v_mov_b32_e32 v8, s3
	v_mul_f64 v[2:3], v[6:7], s[0:1]
	v_mul_f64 v[4:5], v[4:5], s[0:1]
	v_add_co_u32_e32 v6, vcc, s2, v14
	v_addc_co_u32_e32 v7, vcc, v15, v8, vcc
	v_add_co_u32_e32 v14, vcc, s2, v6
	global_store_dwordx4 v[6:7], v[2:5], off
	global_load_dwordx4 v[2:5], v[16:17], off offset:256
	s_waitcnt vmcnt(0) lgkmcnt(0)
	v_mul_f64 v[8:9], v[12:13], v[4:5]
	v_mul_f64 v[4:5], v[10:11], v[4:5]
	v_fma_f64 v[8:9], v[10:11], v[2:3], v[8:9]
	v_fma_f64 v[4:5], v[2:3], v[12:13], -v[4:5]
	v_mul_f64 v[2:3], v[8:9], s[0:1]
	v_mul_f64 v[4:5], v[4:5], s[0:1]
	v_mov_b32_e32 v8, s3
	v_addc_co_u32_e32 v15, vcc, v7, v8, vcc
	global_store_dwordx4 v[14:15], v[2:5], off
	global_load_dwordx4 v[2:5], v[16:17], off offset:1536
	ds_read_b128 v[6:9], v239 offset:17920
	ds_read_b128 v[10:13], v239 offset:19200
	s_waitcnt vmcnt(0) lgkmcnt(1)
	v_mul_f64 v[18:19], v[8:9], v[4:5]
	v_mul_f64 v[4:5], v[6:7], v[4:5]
	v_fma_f64 v[6:7], v[6:7], v[2:3], v[18:19]
	v_fma_f64 v[4:5], v[2:3], v[8:9], -v[4:5]
	v_mul_f64 v[2:3], v[6:7], s[0:1]
	v_mul_f64 v[4:5], v[4:5], s[0:1]
	v_mov_b32_e32 v7, s3
	v_add_co_u32_e32 v6, vcc, s2, v14
	v_addc_co_u32_e32 v7, vcc, v15, v7, vcc
	global_store_dwordx4 v[6:7], v[2:5], off
	global_load_dwordx4 v[2:5], v[16:17], off offset:2816
	v_add_co_u32_e32 v6, vcc, s2, v6
	s_waitcnt vmcnt(0) lgkmcnt(0)
	v_mul_f64 v[8:9], v[12:13], v[4:5]
	v_mul_f64 v[4:5], v[10:11], v[4:5]
	v_fma_f64 v[8:9], v[10:11], v[2:3], v[8:9]
	v_fma_f64 v[4:5], v[2:3], v[12:13], -v[4:5]
	v_or_b32_e32 v12, 0x500, v25
	v_mul_f64 v[2:3], v[8:9], s[0:1]
	v_mul_f64 v[4:5], v[4:5], s[0:1]
	v_mov_b32_e32 v9, s3
	v_addc_co_u32_e32 v7, vcc, v7, v9, vcc
	v_lshlrev_b32_e32 v8, 4, v12
	global_store_dwordx4 v[6:7], v[2:5], off
	global_load_dwordx4 v[2:5], v8, s[12:13]
	ds_read_b128 v[6:9], v239 offset:20480
	s_waitcnt vmcnt(0) lgkmcnt(0)
	v_mul_f64 v[10:11], v[8:9], v[4:5]
	v_mul_f64 v[4:5], v[6:7], v[4:5]
	v_fma_f64 v[6:7], v[6:7], v[2:3], v[10:11]
	v_fma_f64 v[4:5], v[2:3], v[8:9], -v[4:5]
	v_mad_u64_u32 v[8:9], s[2:3], s4, v12, 0
	v_mov_b32_e32 v2, v9
	v_mad_u64_u32 v[9:10], s[2:3], s5, v12, v[2:3]
	v_mul_f64 v[2:3], v[6:7], s[0:1]
	v_mul_f64 v[4:5], v[4:5], s[0:1]
	v_lshlrev_b64 v[6:7], 4, v[8:9]
	v_add_co_u32_e32 v0, vcc, v0, v6
	v_addc_co_u32_e32 v1, vcc, v1, v7, vcc
	global_store_dwordx4 v[0:1], v[2:5], off
.LBB0_23:
	s_endpgm
	.section	.rodata,"a",@progbits
	.p2align	6, 0x0
	.amdhsa_kernel bluestein_single_back_len1360_dim1_dp_op_CI_CI
		.amdhsa_group_segment_fixed_size 65280
		.amdhsa_private_segment_fixed_size 672
		.amdhsa_kernarg_size 104
		.amdhsa_user_sgpr_count 6
		.amdhsa_user_sgpr_private_segment_buffer 1
		.amdhsa_user_sgpr_dispatch_ptr 0
		.amdhsa_user_sgpr_queue_ptr 0
		.amdhsa_user_sgpr_kernarg_segment_ptr 1
		.amdhsa_user_sgpr_dispatch_id 0
		.amdhsa_user_sgpr_flat_scratch_init 0
		.amdhsa_user_sgpr_private_segment_size 0
		.amdhsa_uses_dynamic_stack 0
		.amdhsa_system_sgpr_private_segment_wavefront_offset 1
		.amdhsa_system_sgpr_workgroup_id_x 1
		.amdhsa_system_sgpr_workgroup_id_y 0
		.amdhsa_system_sgpr_workgroup_id_z 0
		.amdhsa_system_sgpr_workgroup_info 0
		.amdhsa_system_vgpr_workitem_id 0
		.amdhsa_next_free_vgpr 256
		.amdhsa_next_free_sgpr 64
		.amdhsa_reserve_vcc 1
		.amdhsa_reserve_flat_scratch 0
		.amdhsa_float_round_mode_32 0
		.amdhsa_float_round_mode_16_64 0
		.amdhsa_float_denorm_mode_32 3
		.amdhsa_float_denorm_mode_16_64 3
		.amdhsa_dx10_clamp 1
		.amdhsa_ieee_mode 1
		.amdhsa_fp16_overflow 0
		.amdhsa_exception_fp_ieee_invalid_op 0
		.amdhsa_exception_fp_denorm_src 0
		.amdhsa_exception_fp_ieee_div_zero 0
		.amdhsa_exception_fp_ieee_overflow 0
		.amdhsa_exception_fp_ieee_underflow 0
		.amdhsa_exception_fp_ieee_inexact 0
		.amdhsa_exception_int_div_zero 0
	.end_amdhsa_kernel
	.text
.Lfunc_end0:
	.size	bluestein_single_back_len1360_dim1_dp_op_CI_CI, .Lfunc_end0-bluestein_single_back_len1360_dim1_dp_op_CI_CI
                                        ; -- End function
	.section	.AMDGPU.csdata,"",@progbits
; Kernel info:
; codeLenInByte = 31904
; NumSgprs: 68
; NumVgprs: 256
; ScratchSize: 672
; MemoryBound: 0
; FloatMode: 240
; IeeeMode: 1
; LDSByteSize: 65280 bytes/workgroup (compile time only)
; SGPRBlocks: 8
; VGPRBlocks: 63
; NumSGPRsForWavesPerEU: 68
; NumVGPRsForWavesPerEU: 256
; Occupancy: 1
; WaveLimiterHint : 1
; COMPUTE_PGM_RSRC2:SCRATCH_EN: 1
; COMPUTE_PGM_RSRC2:USER_SGPR: 6
; COMPUTE_PGM_RSRC2:TRAP_HANDLER: 0
; COMPUTE_PGM_RSRC2:TGID_X_EN: 1
; COMPUTE_PGM_RSRC2:TGID_Y_EN: 0
; COMPUTE_PGM_RSRC2:TGID_Z_EN: 0
; COMPUTE_PGM_RSRC2:TIDIG_COMP_CNT: 0
	.type	__hip_cuid_18011330b4688202,@object ; @__hip_cuid_18011330b4688202
	.section	.bss,"aw",@nobits
	.globl	__hip_cuid_18011330b4688202
__hip_cuid_18011330b4688202:
	.byte	0                               ; 0x0
	.size	__hip_cuid_18011330b4688202, 1

	.ident	"AMD clang version 19.0.0git (https://github.com/RadeonOpenCompute/llvm-project roc-6.4.0 25133 c7fe45cf4b819c5991fe208aaa96edf142730f1d)"
	.section	".note.GNU-stack","",@progbits
	.addrsig
	.addrsig_sym __hip_cuid_18011330b4688202
	.amdgpu_metadata
---
amdhsa.kernels:
  - .args:
      - .actual_access:  read_only
        .address_space:  global
        .offset:         0
        .size:           8
        .value_kind:     global_buffer
      - .actual_access:  read_only
        .address_space:  global
        .offset:         8
        .size:           8
        .value_kind:     global_buffer
      - .actual_access:  read_only
        .address_space:  global
        .offset:         16
        .size:           8
        .value_kind:     global_buffer
      - .actual_access:  read_only
        .address_space:  global
        .offset:         24
        .size:           8
        .value_kind:     global_buffer
      - .actual_access:  read_only
        .address_space:  global
        .offset:         32
        .size:           8
        .value_kind:     global_buffer
      - .offset:         40
        .size:           8
        .value_kind:     by_value
      - .address_space:  global
        .offset:         48
        .size:           8
        .value_kind:     global_buffer
      - .address_space:  global
        .offset:         56
        .size:           8
        .value_kind:     global_buffer
      - .address_space:  global
        .offset:         64
        .size:           8
        .value_kind:     global_buffer
      - .address_space:  global
        .offset:         72
        .size:           8
        .value_kind:     global_buffer
      - .offset:         80
        .size:           4
        .value_kind:     by_value
      - .address_space:  global
        .offset:         88
        .size:           8
        .value_kind:     global_buffer
      - .address_space:  global
        .offset:         96
        .size:           8
        .value_kind:     global_buffer
    .group_segment_fixed_size: 65280
    .kernarg_segment_align: 8
    .kernarg_segment_size: 104
    .language:       OpenCL C
    .language_version:
      - 2
      - 0
    .max_flat_workgroup_size: 255
    .name:           bluestein_single_back_len1360_dim1_dp_op_CI_CI
    .private_segment_fixed_size: 672
    .sgpr_count:     68
    .sgpr_spill_count: 0
    .symbol:         bluestein_single_back_len1360_dim1_dp_op_CI_CI.kd
    .uniform_work_group_size: 1
    .uses_dynamic_stack: false
    .vgpr_count:     256
    .vgpr_spill_count: 196
    .wavefront_size: 64
amdhsa.target:   amdgcn-amd-amdhsa--gfx906
amdhsa.version:
  - 1
  - 2
...

	.end_amdgpu_metadata
